;; amdgpu-corpus repo=ROCm/rocFFT kind=compiled arch=gfx1030 opt=O3
	.text
	.amdgcn_target "amdgcn-amd-amdhsa--gfx1030"
	.amdhsa_code_object_version 6
	.protected	bluestein_single_fwd_len2560_dim1_dp_op_CI_CI ; -- Begin function bluestein_single_fwd_len2560_dim1_dp_op_CI_CI
	.globl	bluestein_single_fwd_len2560_dim1_dp_op_CI_CI
	.p2align	8
	.type	bluestein_single_fwd_len2560_dim1_dp_op_CI_CI,@function
bluestein_single_fwd_len2560_dim1_dp_op_CI_CI: ; @bluestein_single_fwd_len2560_dim1_dp_op_CI_CI
; %bb.0:
	s_load_dwordx4 s[12:15], s[4:5], 0x28
	s_mov_b64 s[30:31], s[2:3]
	s_mov_b64 s[28:29], s[0:1]
	v_mov_b32_e32 v247, v0
	s_add_u32 s28, s28, s7
	s_addc_u32 s29, s29, 0
	s_mov_b32 s7, 0
	s_mov_b32 s1, exec_lo
	s_waitcnt lgkmcnt(0)
	v_cmpx_lt_u64_e64 s[6:7], s[12:13]
	s_cbranch_execz .LBB0_2
; %bb.1:
	s_clause 0x1
	s_load_dwordx4 s[0:3], s[4:5], 0x18
	s_load_dwordx4 s[8:11], s[4:5], 0x0
	v_mov_b32_e32 v6, s6
	v_mov_b32_e32 v7, s7
	v_lshlrev_b32_e32 v240, 4, v247
	v_or_b32_e32 v242, 0x80, v247
	v_lshlrev_b32_e32 v249, 6, v247
	s_mov_b32 s13, 0xbfe2cf23
	s_mov_b32 s21, 0xbfd3c6ef
	v_or_b32_e32 v231, 0x2800, v240
	v_lshlrev_b32_e32 v234, 4, v242
	v_lshlrev_b32_e32 v205, 6, v242
	s_mov_b32 s23, 0xbfe9e377
	s_waitcnt lgkmcnt(0)
	s_load_dwordx4 s[16:19], s[0:1], 0x0
	buffer_store_dword v6, off, s[28:31], 0 ; 4-byte Folded Spill
	buffer_store_dword v7, off, s[28:31], 0 offset:4 ; 4-byte Folded Spill
	s_add_u32 s24, s8, 0xa000
	s_addc_u32 s25, s9, 0
	s_waitcnt lgkmcnt(0)
	v_mad_u64_u32 v[2:3], null, s16, v247, 0
	s_mul_i32 s0, s17, 0x2800
	s_mul_hi_u32 s6, s16, 0x2800
	s_mul_i32 s1, s16, 0x2800
	s_add_i32 s0, s6, s0
	s_mul_hi_u32 s6, s16, 0xffff9000
	s_mul_i32 s12, s17, 0xffff9000
	s_sub_i32 s6, s6, s16
	s_mul_i32 s7, s16, 0xffff9000
	s_add_i32 s6, s6, s12
	v_mad_u64_u32 v[0:1], null, s18, v6, 0
	v_mad_u64_u32 v[4:5], null, s19, v6, v[1:2]
	s_mov_b32 s18, 0x9b97f4a8
	s_mov_b32 s19, 0x3fe9e377
	;; [unrolled: 1-line block ×3, first 2 shown]
	v_mad_u64_u32 v[5:6], null, s17, v247, v[3:4]
	v_mov_b32_e32 v1, v4
	s_mov_b32 s17, 0xbfee6f0e
	v_lshlrev_b64 v[0:1], 4, v[0:1]
	v_mov_b32_e32 v3, v5
	v_add_co_u32 v0, vcc_lo, s14, v0
	v_lshlrev_b64 v[2:3], 4, v[2:3]
	v_add_co_ci_u32_e32 v1, vcc_lo, s15, v1, vcc_lo
	s_mov_b32 s14, 0x134454ff
	s_mov_b32 s15, 0x3fee6f0e
	;; [unrolled: 1-line block ×3, first 2 shown]
	v_add_co_u32 v5, vcc_lo, v0, v2
	v_add_co_ci_u32_e32 v6, vcc_lo, v1, v3, vcc_lo
	global_load_dwordx4 v[21:24], v240, s[8:9]
	global_load_dwordx4 v[1:4], v[5:6], off
	v_add_co_u32 v9, vcc_lo, v5, s1
	v_add_co_ci_u32_e32 v10, vcc_lo, s0, v6, vcc_lo
	global_load_dwordx4 v[53:56], v231, s[8:9]
	global_load_dwordx4 v[5:8], v[9:10], off
	v_add_co_u32 v9, vcc_lo, v9, s1
	v_or_b32_e32 v0, 0x5000, v240
	v_add_co_ci_u32_e32 v10, vcc_lo, s0, v10, vcc_lo
	global_load_dwordx4 v[45:48], v0, s[8:9]
	global_load_dwordx4 v[25:28], v[9:10], off
	v_add_co_u32 v9, vcc_lo, v9, s1
	v_or_b32_e32 v0, 0x7800, v240
	v_add_co_ci_u32_e32 v10, vcc_lo, s0, v10, vcc_lo
	global_load_dwordx4 v[17:20], v0, s[8:9]
	global_load_dwordx4 v[29:32], v[9:10], off
	v_add_co_u32 v9, vcc_lo, v9, s7
	v_add_co_ci_u32_e32 v10, vcc_lo, s6, v10, vcc_lo
	global_load_dwordx4 v[41:44], v234, s[8:9]
	global_load_dwordx4 v[33:36], v[9:10], off
	v_add_co_u32 v9, vcc_lo, v9, s1
	v_or_b32_e32 v0, 0x3000, v240
	v_add_co_ci_u32_e32 v10, vcc_lo, s0, v10, vcc_lo
	global_load_dwordx4 v[49:52], v0, s[8:9]
	global_load_dwordx4 v[37:40], v[9:10], off
	s_waitcnt vmcnt(11)
	buffer_store_dword v21, off, s[28:31], 0 offset:152 ; 4-byte Folded Spill
	buffer_store_dword v22, off, s[28:31], 0 offset:156 ; 4-byte Folded Spill
	;; [unrolled: 1-line block ×4, first 2 shown]
	s_waitcnt vmcnt(8)
	v_mul_f64 v[15:16], v[7:8], v[55:56]
	buffer_store_dword v53, off, s[28:31], 0 offset:120 ; 4-byte Folded Spill
	buffer_store_dword v54, off, s[28:31], 0 offset:124 ; 4-byte Folded Spill
	buffer_store_dword v55, off, s[28:31], 0 offset:128 ; 4-byte Folded Spill
	buffer_store_dword v56, off, s[28:31], 0 offset:132 ; 4-byte Folded Spill
	s_waitcnt vmcnt(7)
	buffer_store_dword v45, off, s[28:31], 0 offset:104 ; 4-byte Folded Spill
	buffer_store_dword v46, off, s[28:31], 0 offset:108 ; 4-byte Folded Spill
	buffer_store_dword v47, off, s[28:31], 0 offset:112 ; 4-byte Folded Spill
	buffer_store_dword v48, off, s[28:31], 0 offset:116 ; 4-byte Folded Spill
	s_waitcnt vmcnt(5)
	buffer_store_dword v17, off, s[28:31], 0 offset:72 ; 4-byte Folded Spill
	buffer_store_dword v18, off, s[28:31], 0 offset:76 ; 4-byte Folded Spill
	buffer_store_dword v19, off, s[28:31], 0 offset:80 ; 4-byte Folded Spill
	buffer_store_dword v20, off, s[28:31], 0 offset:84 ; 4-byte Folded Spill
	s_waitcnt vmcnt(3)
	buffer_store_dword v41, off, s[28:31], 0 offset:24 ; 4-byte Folded Spill
	buffer_store_dword v42, off, s[28:31], 0 offset:28 ; 4-byte Folded Spill
	buffer_store_dword v43, off, s[28:31], 0 offset:32 ; 4-byte Folded Spill
	buffer_store_dword v44, off, s[28:31], 0 offset:36 ; 4-byte Folded Spill
	s_waitcnt vmcnt(1)
	buffer_store_dword v49, off, s[28:31], 0 offset:8 ; 4-byte Folded Spill
	buffer_store_dword v50, off, s[28:31], 0 offset:12 ; 4-byte Folded Spill
	;; [unrolled: 1-line block ×4, first 2 shown]
	v_mul_f64 v[11:12], v[3:4], v[23:24]
	v_mul_f64 v[13:14], v[1:2], v[23:24]
	v_fma_f64 v[85:86], v[5:6], v[53:54], v[15:16]
	v_fma_f64 v[81:82], v[1:2], v[21:22], v[11:12]
	v_fma_f64 v[83:84], v[3:4], v[21:22], -v[13:14]
	v_mul_f64 v[2:3], v[27:28], v[47:48]
	v_mul_f64 v[0:1], v[5:6], v[55:56]
	;; [unrolled: 1-line block ×3, first 2 shown]
	v_add_co_u32 v6, vcc_lo, v9, s1
	v_fma_f64 v[89:90], v[25:26], v[45:46], v[2:3]
	v_mul_f64 v[2:3], v[35:36], v[43:44]
	v_fma_f64 v[87:88], v[7:8], v[53:54], -v[0:1]
	v_mul_f64 v[0:1], v[25:26], v[47:48]
	v_fma_f64 v[93:94], v[29:30], v[17:18], v[4:5]
	s_waitcnt vmcnt(0)
	v_mul_f64 v[4:5], v[39:40], v[51:52]
	v_add_co_ci_u32_e32 v7, vcc_lo, s0, v10, vcc_lo
	v_fma_f64 v[97:98], v[33:34], v[41:42], v[2:3]
	v_or_b32_e32 v2, 0x5800, v240
	v_fma_f64 v[91:92], v[27:28], v[45:46], -v[0:1]
	v_mul_f64 v[0:1], v[29:30], v[19:20]
	v_fma_f64 v[101:102], v[37:38], v[49:50], v[4:5]
	global_load_dwordx4 v[12:15], v2, s[8:9]
	s_waitcnt vmcnt(0)
	buffer_store_dword v12, off, s[28:31], 0 offset:40 ; 4-byte Folded Spill
	buffer_store_dword v13, off, s[28:31], 0 offset:44 ; 4-byte Folded Spill
	;; [unrolled: 1-line block ×4, first 2 shown]
	v_fma_f64 v[95:96], v[31:32], v[17:18], -v[0:1]
	v_mul_f64 v[0:1], v[33:34], v[43:44]
	v_fma_f64 v[99:100], v[35:36], v[41:42], -v[0:1]
	v_mul_f64 v[0:1], v[37:38], v[51:52]
	v_fma_f64 v[103:104], v[39:40], v[49:50], -v[0:1]
	global_load_dwordx4 v[1:4], v[6:7], off
	v_or_b32_e32 v0, 0x8000, v240
	s_waitcnt vmcnt(0)
	v_mul_f64 v[8:9], v[3:4], v[14:15]
	v_mul_f64 v[10:11], v[1:2], v[14:15]
	v_fma_f64 v[105:106], v[1:2], v[12:13], v[8:9]
	v_fma_f64 v[107:108], v[3:4], v[12:13], -v[10:11]
	global_load_dwordx4 v[11:14], v0, s[8:9]
	v_add_co_u32 v9, vcc_lo, v6, s1
	v_add_co_ci_u32_e32 v10, vcc_lo, s0, v7, vcc_lo
	s_waitcnt vmcnt(0)
	buffer_store_dword v11, off, s[28:31], 0 offset:56 ; 4-byte Folded Spill
	buffer_store_dword v12, off, s[28:31], 0 offset:60 ; 4-byte Folded Spill
	;; [unrolled: 1-line block ×4, first 2 shown]
	global_load_dwordx4 v[1:4], v[9:10], off
	s_waitcnt vmcnt(0)
	v_mul_f64 v[5:6], v[3:4], v[13:14]
	v_mul_f64 v[7:8], v[1:2], v[13:14]
	v_fma_f64 v[5:6], v[1:2], v[11:12], v[5:6]
	v_or_b32_e32 v1, 0x100, v247
	v_add_co_u32 v2, vcc_lo, v9, s7
	v_fma_f64 v[7:8], v[3:4], v[11:12], -v[7:8]
	v_add_co_ci_u32_e32 v3, vcc_lo, s6, v10, vcc_lo
	v_lshlrev_b32_e32 v0, 4, v1
	v_lshlrev_b32_e32 v230, 6, v1
	;; [unrolled: 1-line block ×3, first 2 shown]
	global_load_dwordx4 v[13:16], v0, s[8:9]
	buffer_store_dword v0, off, s[28:31], 0 offset:216 ; 4-byte Folded Spill
	v_or_b32_e32 v0, 0x3800, v240
	s_waitcnt vmcnt(0)
	buffer_store_dword v13, off, s[28:31], 0 offset:88 ; 4-byte Folded Spill
	buffer_store_dword v14, off, s[28:31], 0 offset:92 ; 4-byte Folded Spill
	;; [unrolled: 1-line block ×4, first 2 shown]
	global_load_dwordx4 v[37:40], v[2:3], off
	v_add_co_u32 v2, vcc_lo, v2, s1
	v_add_co_ci_u32_e32 v3, vcc_lo, s0, v3, vcc_lo
	s_waitcnt vmcnt(0)
	v_mul_f64 v[9:10], v[39:40], v[15:16]
	v_mul_f64 v[11:12], v[37:38], v[15:16]
	v_fma_f64 v[109:110], v[37:38], v[13:14], v[9:10]
	v_fma_f64 v[111:112], v[39:40], v[13:14], -v[11:12]
	global_load_dwordx4 v[13:16], v0, s[8:9]
	global_load_dwordx4 v[41:44], v[2:3], off
	v_or_b32_e32 v0, 0x6000, v240
	v_add_co_u32 v2, vcc_lo, v2, s1
	v_add_co_ci_u32_e32 v3, vcc_lo, s0, v3, vcc_lo
	s_waitcnt vmcnt(0)
	v_mul_f64 v[9:10], v[43:44], v[15:16]
	v_mul_f64 v[11:12], v[41:42], v[15:16]
	buffer_store_dword v13, off, s[28:31], 0 offset:136 ; 4-byte Folded Spill
	buffer_store_dword v14, off, s[28:31], 0 offset:140 ; 4-byte Folded Spill
	;; [unrolled: 1-line block ×4, first 2 shown]
	v_fma_f64 v[113:114], v[41:42], v[13:14], v[9:10]
	v_fma_f64 v[115:116], v[43:44], v[13:14], -v[11:12]
	global_load_dwordx4 v[13:16], v0, s[8:9]
	v_or_b32_e32 v0, 0x8800, v240
	s_waitcnt vmcnt(0)
	buffer_store_dword v13, off, s[28:31], 0 offset:168 ; 4-byte Folded Spill
	buffer_store_dword v14, off, s[28:31], 0 offset:172 ; 4-byte Folded Spill
	;; [unrolled: 1-line block ×4, first 2 shown]
	global_load_dwordx4 v[45:48], v[2:3], off
	v_add_co_u32 v2, vcc_lo, v2, s1
	v_add_co_ci_u32_e32 v3, vcc_lo, s0, v3, vcc_lo
	s_waitcnt vmcnt(0)
	v_mul_f64 v[9:10], v[47:48], v[15:16]
	v_mul_f64 v[11:12], v[45:46], v[15:16]
	v_fma_f64 v[117:118], v[45:46], v[13:14], v[9:10]
	v_fma_f64 v[119:120], v[47:48], v[13:14], -v[11:12]
	global_load_dwordx4 v[13:16], v0, s[8:9]
	s_waitcnt vmcnt(0)
	buffer_store_dword v13, off, s[28:31], 0 offset:184 ; 4-byte Folded Spill
	buffer_store_dword v14, off, s[28:31], 0 offset:188 ; 4-byte Folded Spill
	;; [unrolled: 1-line block ×4, first 2 shown]
	global_load_dwordx4 v[49:52], v[2:3], off
	s_waitcnt vmcnt(0)
	v_mul_f64 v[9:10], v[51:52], v[15:16]
	v_mul_f64 v[11:12], v[49:50], v[15:16]
	v_fma_f64 v[121:122], v[49:50], v[13:14], v[9:10]
	v_add_co_u32 v9, vcc_lo, v2, s7
	v_or_b32_e32 v2, 0x180, v247
	v_fma_f64 v[123:124], v[51:52], v[13:14], -v[11:12]
	v_add_co_ci_u32_e32 v10, vcc_lo, s6, v3, vcc_lo
	v_lshlrev_b32_e32 v0, 4, v2
	v_lshlrev_b32_e32 v235, 6, v2
	global_load_dwordx4 v[13:16], v0, s[8:9]
	buffer_store_dword v0, off, s[28:31], 0 offset:224 ; 4-byte Folded Spill
	v_or_b32_e32 v0, 0x4000, v240
	s_waitcnt vmcnt(0)
	buffer_store_dword v13, off, s[28:31], 0 offset:200 ; 4-byte Folded Spill
	buffer_store_dword v14, off, s[28:31], 0 offset:204 ; 4-byte Folded Spill
	;; [unrolled: 1-line block ×4, first 2 shown]
	global_load_dwordx4 v[53:56], v[9:10], off
	s_waitcnt vmcnt(0)
	v_mul_f64 v[3:4], v[55:56], v[15:16]
	v_mul_f64 v[11:12], v[53:54], v[15:16]
	v_fma_f64 v[125:126], v[53:54], v[13:14], v[3:4]
	v_add_co_u32 v3, vcc_lo, v9, s1
	v_add_co_ci_u32_e32 v4, vcc_lo, s0, v10, vcc_lo
	global_load_dwordx4 v[250:253], v0, s[8:9]
	global_load_dwordx4 v[57:60], v[3:4], off
	v_add_co_u32 v3, vcc_lo, v3, s1
	v_or_b32_e32 v0, 0x6800, v240
	v_add_co_ci_u32_e32 v4, vcc_lo, s0, v4, vcc_lo
	global_load_dwordx4 v[243:246], v0, s[8:9]
	global_load_dwordx4 v[61:64], v[3:4], off
	v_fma_f64 v[127:128], v[55:56], v[13:14], -v[11:12]
	v_add_co_u32 v3, vcc_lo, v3, s1
	v_or_b32_e32 v0, 0x9000, v240
	v_add_co_ci_u32_e32 v4, vcc_lo, s0, v4, vcc_lo
	s_waitcnt vmcnt(2)
	v_mul_f64 v[9:10], v[59:60], v[252:253]
	v_mul_f64 v[11:12], v[57:58], v[252:253]
	v_fma_f64 v[129:130], v[57:58], v[250:251], v[9:10]
	v_fma_f64 v[131:132], v[59:60], v[250:251], -v[11:12]
	s_waitcnt vmcnt(0)
	v_mul_f64 v[9:10], v[63:64], v[245:246]
	v_mul_f64 v[11:12], v[61:62], v[245:246]
	v_or_b32_e32 v60, 0x9800, v240
	v_fma_f64 v[133:134], v[61:62], v[243:244], v[9:10]
	v_fma_f64 v[135:136], v[63:64], v[243:244], -v[11:12]
	global_load_dwordx4 v[61:64], v0, s[8:9]
	global_load_dwordx4 v[65:68], v[3:4], off
	s_waitcnt vmcnt(0)
	v_mul_f64 v[9:10], v[67:68], v[63:64]
	v_mul_f64 v[11:12], v[65:66], v[63:64]
	v_fma_f64 v[137:138], v[65:66], v[61:62], v[9:10]
	v_add_co_u32 v9, vcc_lo, v3, s7
	v_or_b32_e32 v3, 0x200, v247
	v_add_co_ci_u32_e32 v10, vcc_lo, s6, v4, vcc_lo
	v_fma_f64 v[139:140], v[67:68], v[61:62], -v[11:12]
	s_mov_b32 s6, 0x4755a5e
	v_lshlrev_b32_e32 v0, 4, v3
	v_lshlrev_b32_e32 v248, 6, v3
	s_mov_b32 s7, 0x3fe2cf23
	s_mov_b32 s12, s6
	buffer_store_dword v0, off, s[28:31], 0 offset:220 ; 4-byte Folded Spill
	global_load_dwordx4 v[65:68], v0, s[8:9]
	global_load_dwordx4 v[69:72], v[9:10], off
	v_add_co_u32 v9, vcc_lo, v9, s1
	v_or_b32_e32 v0, 0x4800, v240
	v_add_co_ci_u32_e32 v10, vcc_lo, s0, v10, vcc_lo
	s_waitcnt vmcnt(0)
	v_mul_f64 v[11:12], v[71:72], v[67:68]
	v_mul_f64 v[13:14], v[69:70], v[67:68]
	v_fma_f64 v[141:142], v[69:70], v[65:66], v[11:12]
	v_fma_f64 v[143:144], v[71:72], v[65:66], -v[13:14]
	global_load_dwordx4 v[69:72], v0, s[8:9]
	global_load_dwordx4 v[73:76], v[9:10], off
	v_add_co_u32 v9, vcc_lo, v9, s1
	v_or_b32_e32 v0, 0x7000, v240
	v_add_co_ci_u32_e32 v10, vcc_lo, s0, v10, vcc_lo
	s_waitcnt vmcnt(0)
	v_mul_f64 v[11:12], v[75:76], v[71:72]
	v_mul_f64 v[13:14], v[73:74], v[71:72]
	v_fma_f64 v[145:146], v[73:74], v[69:70], v[11:12]
	v_fma_f64 v[147:148], v[75:76], v[69:70], -v[13:14]
	global_load_dwordx4 v[73:76], v0, s[8:9]
	global_load_dwordx4 v[77:80], v[9:10], off
	v_add_co_u32 v9, vcc_lo, v9, s1
	v_add_co_ci_u32_e32 v10, vcc_lo, s0, v10, vcc_lo
	s_waitcnt vmcnt(0)
	v_mul_f64 v[11:12], v[79:80], v[75:76]
	v_mul_f64 v[13:14], v[77:78], v[75:76]
	v_fma_f64 v[149:150], v[77:78], v[73:74], v[11:12]
	v_fma_f64 v[151:152], v[79:80], v[73:74], -v[13:14]
	global_load_dwordx4 v[153:156], v[9:10], off
	global_load_dwordx4 v[77:80], v60, s[8:9]
	s_mov_b32 s8, 0x372fe950
	s_mov_b32 s9, 0x3fd3c6ef
	s_mov_b32 s20, s8
	s_waitcnt vmcnt(0)
	v_mul_f64 v[9:10], v[155:156], v[79:80]
	v_mul_f64 v[11:12], v[153:154], v[79:80]
	v_fma_f64 v[153:154], v[153:154], v[77:78], v[9:10]
	v_fma_f64 v[155:156], v[155:156], v[77:78], -v[11:12]
	ds_write_b128 v240, v[81:84]
	ds_write_b128 v240, v[85:88] offset:10240
	ds_write_b128 v240, v[89:92] offset:20480
	;; [unrolled: 1-line block ×19, first 2 shown]
	s_load_dwordx4 s[0:3], s[2:3], 0x0
	s_waitcnt lgkmcnt(0)
	s_waitcnt_vscnt null, 0x0
	s_barrier
	buffer_gl0_inv
	ds_read_b128 v[4:7], v240 offset:10240
	ds_read_b128 v[81:84], v240 offset:30720
	s_waitcnt lgkmcnt(0)
	v_add_f64 v[8:9], v[4:5], -v[81:82]
	v_add_f64 v[10:11], v[6:7], -v[83:84]
	ds_read_b128 v[81:84], v240 offset:20480
	ds_read_b128 v[85:88], v240
	s_waitcnt lgkmcnt(0)
	v_add_f64 v[12:13], v[85:86], -v[81:82]
	v_add_f64 v[14:15], v[87:88], -v[83:84]
	v_fma_f64 v[16:17], v[4:5], 2.0, -v[8:9]
	v_fma_f64 v[18:19], v[6:7], 2.0, -v[10:11]
	v_add_f64 v[4:5], v[12:13], -v[10:11]
	v_add_f64 v[6:7], v[14:15], v[8:9]
	v_fma_f64 v[8:9], v[85:86], 2.0, -v[12:13]
	v_fma_f64 v[10:11], v[87:88], 2.0, -v[14:15]
	ds_read_b128 v[85:88], v240 offset:2048
	ds_read_b128 v[89:92], v240 offset:22528
	;; [unrolled: 1-line block ×16, first 2 shown]
	s_waitcnt lgkmcnt(0)
	s_barrier
	buffer_gl0_inv
	v_fma_f64 v[81:82], v[12:13], 2.0, -v[4:5]
	v_fma_f64 v[83:84], v[14:15], 2.0, -v[6:7]
	ds_write_b128 v249, v[4:7] offset:48
	v_add_f64 v[6:7], v[97:98], -v[93:94]
	v_add_f64 v[4:5], v[99:100], -v[95:96]
	v_add_f64 v[12:13], v[85:86], -v[89:90]
	v_add_f64 v[14:15], v[87:88], -v[91:92]
	v_fma_f64 v[20:21], v[97:98], 2.0, -v[6:7]
	v_fma_f64 v[22:23], v[99:100], 2.0, -v[4:5]
	v_add_f64 v[4:5], v[12:13], -v[4:5]
	v_add_f64 v[6:7], v[14:15], v[6:7]
	v_fma_f64 v[24:25], v[85:86], 2.0, -v[12:13]
	v_fma_f64 v[26:27], v[87:88], 2.0, -v[14:15]
	v_fma_f64 v[85:86], v[12:13], 2.0, -v[4:5]
	v_fma_f64 v[87:88], v[14:15], 2.0, -v[6:7]
	ds_write_b128 v205, v[4:7] offset:48
	v_add_f64 v[6:7], v[109:110], -v[113:114]
	v_add_f64 v[4:5], v[111:112], -v[115:116]
	v_add_f64 v[12:13], v[101:102], -v[105:106]
	v_add_f64 v[14:15], v[103:104], -v[107:108]
	v_fma_f64 v[28:29], v[109:110], 2.0, -v[6:7]
	v_fma_f64 v[30:31], v[111:112], 2.0, -v[4:5]
	v_add_f64 v[4:5], v[12:13], -v[4:5]
	v_add_f64 v[6:7], v[14:15], v[6:7]
	v_fma_f64 v[32:33], v[101:102], 2.0, -v[12:13]
	v_fma_f64 v[34:35], v[103:104], 2.0, -v[14:15]
	;; [unrolled: 13-line block ×3, first 2 shown]
	v_fma_f64 v[93:94], v[12:13], 2.0, -v[4:5]
	v_fma_f64 v[95:96], v[14:15], 2.0, -v[6:7]
	ds_write_b128 v235, v[4:7] offset:48
	v_add_f64 v[6:7], v[141:142], -v[145:146]
	v_add_f64 v[4:5], v[143:144], -v[147:148]
	;; [unrolled: 1-line block ×4, first 2 shown]
	v_fma_f64 v[44:45], v[141:142], 2.0, -v[6:7]
	v_fma_f64 v[46:47], v[143:144], 2.0, -v[4:5]
	v_add_f64 v[4:5], v[12:13], -v[4:5]
	v_add_f64 v[6:7], v[14:15], v[6:7]
	ds_write_b128 v248, v[4:7] offset:48
	ds_write_b128 v249, v[81:84] offset:16
	v_fma_f64 v[97:98], v[12:13], 2.0, -v[4:5]
	v_fma_f64 v[99:100], v[14:15], 2.0, -v[6:7]
	v_add_f64 v[4:5], v[8:9], -v[16:17]
	v_add_f64 v[6:7], v[10:11], -v[18:19]
	ds_write_b128 v249, v[4:7] offset:32
	ds_write_b128 v205, v[85:88] offset:16
	v_fma_f64 v[81:82], v[8:9], 2.0, -v[4:5]
	v_fma_f64 v[83:84], v[10:11], 2.0, -v[6:7]
	v_add_f64 v[4:5], v[24:25], -v[20:21]
	v_add_f64 v[6:7], v[26:27], -v[22:23]
	;; [unrolled: 6-line block ×3, first 2 shown]
	v_fma_f64 v[48:49], v[133:134], 2.0, -v[12:13]
	v_fma_f64 v[50:51], v[135:136], 2.0, -v[14:15]
	ds_write_b128 v230, v[4:7] offset:32
	ds_write_b128 v235, v[93:96] offset:16
	v_fma_f64 v[89:90], v[32:33], 2.0, -v[4:5]
	v_fma_f64 v[91:92], v[34:35], 2.0, -v[6:7]
	v_add_f64 v[4:5], v[40:41], -v[36:37]
	v_add_f64 v[6:7], v[42:43], -v[38:39]
	ds_write_b128 v235, v[4:7] offset:32
	ds_write_b128 v248, v[97:100] offset:16
	v_fma_f64 v[93:94], v[40:41], 2.0, -v[4:5]
	v_fma_f64 v[95:96], v[42:43], 2.0, -v[6:7]
	v_add_f64 v[4:5], v[48:49], -v[44:45]
	v_add_f64 v[6:7], v[50:51], -v[46:47]
	v_lshlrev_b32_e32 v12, 2, v3
	v_fma_f64 v[97:98], v[48:49], 2.0, -v[4:5]
	v_fma_f64 v[99:100], v[50:51], 2.0, -v[6:7]
	ds_write_b128 v248, v[4:7] offset:32
	ds_write_b128 v249, v[81:84]
	ds_write_b128 v249, v[85:88] offset:8192
	ds_write_b128 v249, v[89:92] offset:16384
	;; [unrolled: 1-line block ×4, first 2 shown]
	v_and_b32_e32 v5, 3, v247
	s_waitcnt lgkmcnt(0)
	s_barrier
	buffer_gl0_inv
	ds_read_b128 v[6:9], v240 offset:10240
	v_mad_u64_u32 v[81:82], null, v5, 48, s[10:11]
	v_lshlrev_b32_e32 v4, 2, v247
	v_and_or_b32 v0, 0x1f0, v4, v5
	s_clause 0x2
	global_load_dwordx4 v[149:152], v[81:82], off
	global_load_dwordx4 v[189:192], v[81:82], off offset:16
	global_load_dwordx4 v[185:188], v[81:82], off offset:32
	v_lshlrev_b32_e32 v254, 4, v0
	s_waitcnt vmcnt(2) lgkmcnt(0)
	v_mul_f64 v[10:11], v[8:9], v[151:152]
	v_fma_f64 v[13:14], v[6:7], v[149:150], -v[10:11]
	v_mul_f64 v[6:7], v[6:7], v[151:152]
	v_fma_f64 v[15:16], v[8:9], v[149:150], v[6:7]
	ds_read_b128 v[6:9], v240 offset:20480
	s_waitcnt vmcnt(1) lgkmcnt(0)
	v_mul_f64 v[10:11], v[8:9], v[191:192]
	v_fma_f64 v[10:11], v[6:7], v[189:190], -v[10:11]
	v_mul_f64 v[6:7], v[6:7], v[191:192]
	v_fma_f64 v[17:18], v[8:9], v[189:190], v[6:7]
	ds_read_b128 v[6:9], v240 offset:30720
	s_waitcnt vmcnt(0) lgkmcnt(0)
	v_mul_f64 v[19:20], v[8:9], v[187:188]
	v_fma_f64 v[19:20], v[6:7], v[185:186], -v[19:20]
	v_mul_f64 v[6:7], v[6:7], v[187:188]
	v_add_f64 v[19:20], v[13:14], -v[19:20]
	v_fma_f64 v[21:22], v[8:9], v[185:186], v[6:7]
	ds_read_b128 v[6:9], v240 offset:12288
	s_waitcnt lgkmcnt(0)
	v_mul_f64 v[23:24], v[8:9], v[151:152]
	v_add_f64 v[21:22], v[15:16], -v[21:22]
	v_fma_f64 v[23:24], v[6:7], v[149:150], -v[23:24]
	v_mul_f64 v[6:7], v[6:7], v[151:152]
	v_fma_f64 v[25:26], v[8:9], v[149:150], v[6:7]
	ds_read_b128 v[6:9], v240 offset:22528
	s_waitcnt lgkmcnt(0)
	v_mul_f64 v[27:28], v[8:9], v[191:192]
	v_fma_f64 v[27:28], v[6:7], v[189:190], -v[27:28]
	v_mul_f64 v[6:7], v[6:7], v[191:192]
	v_fma_f64 v[29:30], v[8:9], v[189:190], v[6:7]
	ds_read_b128 v[6:9], v240 offset:32768
	s_waitcnt lgkmcnt(0)
	v_mul_f64 v[31:32], v[8:9], v[187:188]
	v_fma_f64 v[31:32], v[6:7], v[185:186], -v[31:32]
	v_mul_f64 v[6:7], v[6:7], v[187:188]
	v_add_f64 v[31:32], v[23:24], -v[31:32]
	v_fma_f64 v[33:34], v[8:9], v[185:186], v[6:7]
	ds_read_b128 v[6:9], v240 offset:14336
	s_waitcnt lgkmcnt(0)
	v_mul_f64 v[35:36], v[8:9], v[151:152]
	v_fma_f64 v[35:36], v[6:7], v[149:150], -v[35:36]
	v_mul_f64 v[6:7], v[6:7], v[151:152]
	v_fma_f64 v[37:38], v[8:9], v[149:150], v[6:7]
	ds_read_b128 v[6:9], v240 offset:24576
	s_waitcnt lgkmcnt(0)
	v_mul_f64 v[39:40], v[8:9], v[191:192]
	v_fma_f64 v[39:40], v[6:7], v[189:190], -v[39:40]
	v_mul_f64 v[6:7], v[6:7], v[191:192]
	v_fma_f64 v[41:42], v[8:9], v[189:190], v[6:7]
	ds_read_b128 v[6:9], v240 offset:34816
	s_waitcnt lgkmcnt(0)
	v_mul_f64 v[43:44], v[8:9], v[187:188]
	v_fma_f64 v[43:44], v[6:7], v[185:186], -v[43:44]
	v_mul_f64 v[6:7], v[6:7], v[187:188]
	v_add_f64 v[43:44], v[35:36], -v[43:44]
	v_fma_f64 v[45:46], v[8:9], v[185:186], v[6:7]
	ds_read_b128 v[6:9], v240 offset:16384
	s_waitcnt lgkmcnt(0)
	v_mul_f64 v[47:48], v[8:9], v[151:152]
	;; [unrolled: 19-line block ×3, first 2 shown]
	v_add_f64 v[107:108], v[49:50], -v[107:108]
	v_fma_f64 v[109:110], v[6:7], v[149:150], -v[53:54]
	v_mul_f64 v[6:7], v[6:7], v[151:152]
	v_fma_f64 v[111:112], v[8:9], v[149:150], v[6:7]
	ds_read_b128 v[6:9], v240 offset:28672
	s_waitcnt lgkmcnt(0)
	v_mul_f64 v[53:54], v[8:9], v[191:192]
	v_fma_f64 v[113:114], v[6:7], v[189:190], -v[53:54]
	v_mul_f64 v[6:7], v[6:7], v[191:192]
	v_fma_f64 v[115:116], v[8:9], v[189:190], v[6:7]
	ds_read_b128 v[6:9], v240 offset:38912
	s_waitcnt lgkmcnt(0)
	v_mul_f64 v[53:54], v[8:9], v[187:188]
	v_fma_f64 v[117:118], v[6:7], v[185:186], -v[53:54]
	v_mul_f64 v[6:7], v[6:7], v[187:188]
	v_add_f64 v[117:118], v[109:110], -v[117:118]
	v_fma_f64 v[119:120], v[8:9], v[185:186], v[6:7]
	ds_read_b128 v[6:9], v240
	ds_read_b128 v[85:88], v240 offset:2048
	ds_read_b128 v[89:92], v240 offset:8192
	;; [unrolled: 1-line block ×4, first 2 shown]
	s_waitcnt lgkmcnt(0)
	s_barrier
	buffer_gl0_inv
	v_add_f64 v[10:11], v[6:7], -v[10:11]
	v_add_f64 v[17:18], v[8:9], -v[17:18]
	;; [unrolled: 1-line block ×3, first 2 shown]
	v_fma_f64 v[121:122], v[6:7], 2.0, -v[10:11]
	v_fma_f64 v[123:124], v[8:9], 2.0, -v[17:18]
	v_add_f64 v[6:7], v[10:11], -v[21:22]
	v_add_f64 v[8:9], v[17:18], v[19:20]
	v_fma_f64 v[81:82], v[10:11], 2.0, -v[6:7]
	v_fma_f64 v[83:84], v[17:18], 2.0, -v[8:9]
	ds_write_b128 v254, v[6:9] offset:192
	v_add_f64 v[6:7], v[85:86], -v[27:28]
	v_add_f64 v[8:9], v[87:88], -v[29:30]
	;; [unrolled: 1-line block ×3, first 2 shown]
	v_lshlrev_b32_e32 v11, 2, v2
	v_fma_f64 v[2:3], v[13:14], 2.0, -v[19:20]
	v_fma_f64 v[17:18], v[85:86], 2.0, -v[6:7]
	;; [unrolled: 1-line block ×3, first 2 shown]
	v_add_f64 v[85:86], v[6:7], -v[29:30]
	v_add_f64 v[87:88], v[8:9], v[31:32]
	v_fma_f64 v[101:102], v[6:7], 2.0, -v[85:86]
	v_fma_f64 v[103:104], v[8:9], 2.0, -v[87:88]
	v_add_f64 v[7:8], v[93:94], -v[39:40]
	v_add_f64 v[9:10], v[95:96], -v[41:42]
	;; [unrolled: 1-line block ×3, first 2 shown]
	v_lshlrev_b32_e32 v6, 2, v242
	v_and_or_b32 v0, 0x3f0, v6, v5
	v_lshlrev_b32_e32 v54, 4, v0
	v_and_or_b32 v0, 0x5f0, v1, v5
	ds_write_b128 v54, v[85:88] offset:192
	v_lshlrev_b32_e32 v53, 4, v0
	v_and_or_b32 v0, 0x7f0, v11, v5
	v_fma_f64 v[33:34], v[93:94], 2.0, -v[7:8]
	v_add_f64 v[87:88], v[9:10], v[43:44]
	v_add_f64 v[85:86], v[7:8], -v[41:42]
	v_fma_f64 v[39:40], v[95:96], 2.0, -v[9:10]
	v_lshlrev_b32_e32 v57, 4, v0
	v_and_or_b32 v0, 0x9f0, v12, v5
	v_lshlrev_b32_e32 v255, 4, v0
	v_fma_f64 v[95:96], v[9:10], 2.0, -v[87:88]
	v_fma_f64 v[93:94], v[7:8], 2.0, -v[85:86]
	v_add_f64 v[7:8], v[97:98], -v[51:52]
	ds_write_b128 v53, v[85:88] offset:192
	v_add_f64 v[9:10], v[99:100], -v[55:56]
	v_add_f64 v[85:86], v[7:8], -v[107:108]
	v_fma_f64 v[45:46], v[97:98], 2.0, -v[7:8]
	v_add_f64 v[87:88], v[9:10], v[105:106]
	v_fma_f64 v[55:56], v[99:100], 2.0, -v[9:10]
	v_fma_f64 v[97:98], v[7:8], 2.0, -v[85:86]
	v_add_f64 v[7:8], v[89:90], -v[113:114]
	v_fma_f64 v[99:100], v[9:10], 2.0, -v[87:88]
	ds_write_b128 v57, v[85:88] offset:192
	v_add_f64 v[9:10], v[91:92], -v[115:116]
	v_add_f64 v[85:86], v[7:8], -v[119:120]
	v_fma_f64 v[113:114], v[89:90], 2.0, -v[7:8]
	v_add_f64 v[87:88], v[9:10], v[117:118]
	ds_write_b128 v255, v[85:88] offset:192
	ds_write_b128 v254, v[81:84] offset:64
	v_fma_f64 v[89:90], v[7:8], 2.0, -v[85:86]
	v_fma_f64 v[7:8], v[15:16], 2.0, -v[21:22]
	v_add_f64 v[81:82], v[121:122], -v[2:3]
	v_fma_f64 v[2:3], v[23:24], 2.0, -v[31:32]
	v_fma_f64 v[115:116], v[91:92], 2.0, -v[9:10]
	;; [unrolled: 1-line block ×3, first 2 shown]
	v_add_f64 v[83:84], v[123:124], -v[7:8]
	v_fma_f64 v[7:8], v[25:26], 2.0, -v[29:30]
	v_fma_f64 v[85:86], v[121:122], 2.0, -v[81:82]
	ds_write_b128 v254, v[81:84] offset:128
	ds_write_b128 v54, v[101:104] offset:64
	v_fma_f64 v[87:88], v[123:124], 2.0, -v[83:84]
	v_add_f64 v[81:82], v[17:18], -v[2:3]
	v_add_f64 v[83:84], v[27:28], -v[7:8]
	v_fma_f64 v[2:3], v[35:36], 2.0, -v[43:44]
	v_fma_f64 v[7:8], v[37:38], 2.0, -v[41:42]
	ds_write_b128 v54, v[81:84] offset:128
	ds_write_b128 v53, v[93:96] offset:64
	v_fma_f64 v[101:102], v[17:18], 2.0, -v[81:82]
	v_fma_f64 v[103:104], v[27:28], 2.0, -v[83:84]
	v_add_f64 v[81:82], v[33:34], -v[2:3]
	v_add_f64 v[83:84], v[39:40], -v[7:8]
	v_fma_f64 v[2:3], v[47:48], 2.0, -v[105:106]
	v_fma_f64 v[7:8], v[49:50], 2.0, -v[107:108]
	ds_write_b128 v53, v[81:84] offset:128
	ds_write_b128 v57, v[97:100] offset:64
	v_fma_f64 v[93:94], v[33:34], 2.0, -v[81:82]
	;; [unrolled: 8-line block ×3, first 2 shown]
	v_fma_f64 v[99:100], v[55:56], 2.0, -v[83:84]
	v_add_f64 v[81:82], v[113:114], -v[2:3]
	v_add_f64 v[83:84], v[115:116], -v[7:8]
	v_fma_f64 v[89:90], v[113:114], 2.0, -v[81:82]
	v_fma_f64 v[91:92], v[115:116], 2.0, -v[83:84]
	ds_write_b128 v255, v[81:84] offset:128
	ds_write_b128 v254, v[85:88]
	ds_write_b128 v54, v[101:104]
	;; [unrolled: 1-line block ×5, first 2 shown]
	v_and_b32_e32 v83, 15, v247
	s_waitcnt lgkmcnt(0)
	s_barrier
	buffer_gl0_inv
	ds_read_b128 v[84:87], v240 offset:10240
	v_mad_u64_u32 v[81:82], null, v83, 48, s[10:11]
	v_and_or_b32 v0, 0x1c0, v4, v83
	v_lshlrev_b32_e32 v52, 4, v0
	s_clause 0x2
	global_load_dwordx4 v[153:156], v[81:82], off offset:192
	global_load_dwordx4 v[197:200], v[81:82], off offset:208
	;; [unrolled: 1-line block ×3, first 2 shown]
	v_and_or_b32 v0, 0x3c0, v6, v83
	s_waitcnt vmcnt(2) lgkmcnt(0)
	v_mul_f64 v[2:3], v[86:87], v[155:156]
	v_mul_f64 v[7:8], v[84:85], v[155:156]
	v_fma_f64 v[2:3], v[84:85], v[153:154], -v[2:3]
	v_fma_f64 v[13:14], v[86:87], v[153:154], v[7:8]
	ds_read_b128 v[84:87], v240 offset:20480
	s_waitcnt vmcnt(1) lgkmcnt(0)
	v_mul_f64 v[7:8], v[86:87], v[199:200]
	v_mul_f64 v[9:10], v[84:85], v[199:200]
	v_fma_f64 v[7:8], v[84:85], v[197:198], -v[7:8]
	v_fma_f64 v[9:10], v[86:87], v[197:198], v[9:10]
	ds_read_b128 v[84:87], v240 offset:30720
	s_waitcnt vmcnt(0) lgkmcnt(0)
	v_mul_f64 v[15:16], v[86:87], v[195:196]
	v_mul_f64 v[17:18], v[84:85], v[195:196]
	v_fma_f64 v[15:16], v[84:85], v[193:194], -v[15:16]
	v_fma_f64 v[17:18], v[86:87], v[193:194], v[17:18]
	ds_read_b128 v[84:87], v240 offset:12288
	s_waitcnt lgkmcnt(0)
	v_mul_f64 v[19:20], v[86:87], v[155:156]
	v_mul_f64 v[21:22], v[84:85], v[155:156]
	v_add_f64 v[17:18], v[13:14], -v[17:18]
	v_add_f64 v[15:16], v[2:3], -v[15:16]
	v_fma_f64 v[19:20], v[84:85], v[153:154], -v[19:20]
	v_fma_f64 v[21:22], v[86:87], v[153:154], v[21:22]
	ds_read_b128 v[84:87], v240 offset:22528
	s_waitcnt lgkmcnt(0)
	v_mul_f64 v[23:24], v[86:87], v[199:200]
	v_mul_f64 v[25:26], v[84:85], v[199:200]
	v_fma_f64 v[23:24], v[84:85], v[197:198], -v[23:24]
	v_fma_f64 v[25:26], v[86:87], v[197:198], v[25:26]
	ds_read_b128 v[84:87], v240 offset:32768
	s_waitcnt lgkmcnt(0)
	v_mul_f64 v[27:28], v[86:87], v[195:196]
	v_mul_f64 v[29:30], v[84:85], v[195:196]
	v_fma_f64 v[27:28], v[84:85], v[193:194], -v[27:28]
	v_fma_f64 v[29:30], v[86:87], v[193:194], v[29:30]
	ds_read_b128 v[84:87], v240 offset:14336
	s_waitcnt lgkmcnt(0)
	v_mul_f64 v[31:32], v[86:87], v[155:156]
	v_mul_f64 v[33:34], v[84:85], v[155:156]
	v_add_f64 v[29:30], v[21:22], -v[29:30]
	v_fma_f64 v[31:32], v[84:85], v[153:154], -v[31:32]
	v_fma_f64 v[33:34], v[86:87], v[153:154], v[33:34]
	ds_read_b128 v[84:87], v240 offset:24576
	s_waitcnt lgkmcnt(0)
	v_mul_f64 v[35:36], v[86:87], v[199:200]
	v_mul_f64 v[37:38], v[84:85], v[199:200]
	v_fma_f64 v[35:36], v[84:85], v[197:198], -v[35:36]
	v_fma_f64 v[37:38], v[86:87], v[197:198], v[37:38]
	ds_read_b128 v[84:87], v240 offset:34816
	s_waitcnt lgkmcnt(0)
	v_mul_f64 v[39:40], v[86:87], v[195:196]
	v_mul_f64 v[41:42], v[84:85], v[195:196]
	;; [unrolled: 6-line block ×3, first 2 shown]
	v_add_f64 v[41:42], v[33:34], -v[41:42]
	v_add_f64 v[39:40], v[31:32], -v[39:40]
	v_fma_f64 v[43:44], v[84:85], v[153:154], -v[43:44]
	v_fma_f64 v[45:46], v[86:87], v[153:154], v[45:46]
	ds_read_b128 v[84:87], v240 offset:26624
	s_waitcnt lgkmcnt(0)
	v_mul_f64 v[47:48], v[86:87], v[199:200]
	v_mul_f64 v[49:50], v[84:85], v[199:200]
	v_fma_f64 v[47:48], v[84:85], v[197:198], -v[47:48]
	v_fma_f64 v[49:50], v[86:87], v[197:198], v[49:50]
	ds_read_b128 v[84:87], v240 offset:36864
	s_waitcnt lgkmcnt(0)
	v_mul_f64 v[55:56], v[86:87], v[195:196]
	v_fma_f64 v[81:82], v[84:85], v[193:194], -v[55:56]
	v_mul_f64 v[55:56], v[84:85], v[195:196]
	v_fma_f64 v[108:109], v[86:87], v[193:194], v[55:56]
	ds_read_b128 v[84:87], v240 offset:18432
	s_waitcnt lgkmcnt(0)
	v_mul_f64 v[55:56], v[86:87], v[155:156]
	v_fma_f64 v[110:111], v[84:85], v[153:154], -v[55:56]
	v_mul_f64 v[55:56], v[84:85], v[155:156]
	;; [unrolled: 6-line block ×4, first 2 shown]
	v_add_f64 v[118:119], v[110:111], -v[118:119]
	v_fma_f64 v[120:121], v[86:87], v[193:194], v[55:56]
	ds_read_b128 v[84:87], v240
	ds_read_b128 v[92:95], v240 offset:2048
	ds_read_b128 v[96:99], v240 offset:8192
	;; [unrolled: 1-line block ×4, first 2 shown]
	s_waitcnt lgkmcnt(0)
	s_barrier
	buffer_gl0_inv
	v_add_f64 v[4:5], v[92:93], -v[23:24]
	v_lshlrev_b32_e32 v23, 4, v0
	v_add_f64 v[7:8], v[84:85], -v[7:8]
	v_add_f64 v[9:10], v[86:87], -v[9:10]
	v_and_or_b32 v0, 0x5c0, v1, v83
	v_add_f64 v[120:121], v[112:113], -v[120:121]
	v_lshlrev_b32_e32 v55, 4, v0
	v_add_f64 v[0:1], v[104:105], -v[47:48]
	v_fma_f64 v[122:123], v[84:85], 2.0, -v[7:8]
	v_fma_f64 v[124:125], v[86:87], 2.0, -v[9:10]
	v_add_f64 v[84:85], v[7:8], -v[17:18]
	v_add_f64 v[86:87], v[9:10], v[15:16]
	v_fma_f64 v[88:89], v[7:8], 2.0, -v[84:85]
	ds_write_b128 v52, v[84:87] offset:768
	v_add_f64 v[7:8], v[94:95], -v[25:26]
	v_add_f64 v[26:27], v[19:20], -v[27:28]
	;; [unrolled: 1-line block ×3, first 2 shown]
	v_fma_f64 v[90:91], v[9:10], 2.0, -v[86:87]
	v_fma_f64 v[24:25], v[92:93], 2.0, -v[4:5]
	;; [unrolled: 1-line block ×3, first 2 shown]
	v_add_f64 v[86:87], v[7:8], v[26:27]
	v_fma_f64 v[92:93], v[4:5], 2.0, -v[84:85]
	v_add_f64 v[4:5], v[100:101], -v[35:36]
	v_fma_f64 v[94:95], v[7:8], 2.0, -v[86:87]
	ds_write_b128 v23, v[84:87] offset:768
	v_add_f64 v[6:7], v[102:103], -v[37:38]
	v_add_f64 v[84:85], v[4:5], -v[41:42]
	v_fma_f64 v[35:36], v[100:101], 2.0, -v[4:5]
	v_add_f64 v[86:87], v[6:7], v[39:40]
	v_fma_f64 v[100:101], v[4:5], 2.0, -v[84:85]
	v_add_f64 v[4:5], v[106:107], -v[49:50]
	v_add_f64 v[49:50], v[45:46], -v[108:109]
	v_add_f64 v[108:109], v[43:44], -v[81:82]
	v_fma_f64 v[37:38], v[102:103], 2.0, -v[6:7]
	ds_write_b128 v55, v[84:87] offset:768
	v_fma_f64 v[102:103], v[6:7], 2.0, -v[86:87]
	v_fma_f64 v[6:7], v[104:105], 2.0, -v[0:1]
	v_add_f64 v[84:85], v[0:1], -v[49:50]
	v_add_f64 v[86:87], v[4:5], v[108:109]
	v_fma_f64 v[47:48], v[106:107], 2.0, -v[4:5]
	v_fma_f64 v[104:105], v[0:1], 2.0, -v[84:85]
	v_and_or_b32 v0, 0x7c0, v11, v83
	v_fma_f64 v[106:107], v[4:5], 2.0, -v[86:87]
	v_add_f64 v[4:5], v[98:99], -v[116:117]
	v_lshlrev_b32_e32 v8, 4, v0
	v_add_f64 v[0:1], v[96:97], -v[114:115]
	ds_write_b128 v8, v[84:87] offset:768
	v_add_f64 v[86:87], v[4:5], v[118:119]
	v_fma_f64 v[116:117], v[98:99], 2.0, -v[4:5]
	v_add_f64 v[84:85], v[0:1], -v[120:121]
	v_fma_f64 v[114:115], v[96:97], 2.0, -v[0:1]
	v_fma_f64 v[98:99], v[4:5], 2.0, -v[86:87]
	v_fma_f64 v[96:97], v[0:1], 2.0, -v[84:85]
	v_and_or_b32 v0, 0x9c0, v12, v83
	v_lshlrev_b32_e32 v56, 4, v0
	v_fma_f64 v[0:1], v[2:3], 2.0, -v[15:16]
	v_fma_f64 v[2:3], v[13:14], 2.0, -v[17:18]
	ds_write_b128 v56, v[84:87] offset:768
	ds_write_b128 v52, v[88:91] offset:256
	v_add_f64 v[81:82], v[122:123], -v[0:1]
	v_add_f64 v[83:84], v[124:125], -v[2:3]
	v_fma_f64 v[0:1], v[19:20], 2.0, -v[26:27]
	v_fma_f64 v[2:3], v[21:22], 2.0, -v[29:30]
	ds_write_b128 v52, v[81:84] offset:512
	ds_write_b128 v23, v[92:95] offset:256
	v_fma_f64 v[85:86], v[122:123], 2.0, -v[81:82]
	v_fma_f64 v[87:88], v[124:125], 2.0, -v[83:84]
	v_add_f64 v[81:82], v[24:25], -v[0:1]
	v_add_f64 v[83:84], v[126:127], -v[2:3]
	v_fma_f64 v[0:1], v[31:32], 2.0, -v[39:40]
	v_fma_f64 v[2:3], v[33:34], 2.0, -v[41:42]
	ds_write_b128 v23, v[81:84] offset:512
	ds_write_b128 v55, v[100:103] offset:256
	v_fma_f64 v[89:90], v[24:25], 2.0, -v[81:82]
	v_fma_f64 v[91:92], v[126:127], 2.0, -v[83:84]
	;; [unrolled: 8-line block ×4, first 2 shown]
	v_add_f64 v[81:82], v[114:115], -v[0:1]
	v_add_f64 v[83:84], v[116:117], -v[2:3]
	v_and_b32_e32 v2, 63, v247
	v_lshrrev_b32_e32 v7, 6, v247
	v_mad_u64_u32 v[0:1], null, 0x90, v2, s[10:11]
	v_mul_u32_u24_e32 v7, 0x280, v7
	v_or_b32_e32 v7, v7, v2
	v_lshlrev_b32_e32 v241, 4, v7
	v_fma_f64 v[93:94], v[114:115], 2.0, -v[81:82]
	v_fma_f64 v[95:96], v[116:117], 2.0, -v[83:84]
	ds_write_b128 v56, v[81:84] offset:512
	ds_write_b128 v52, v[85:88]
	ds_write_b128 v23, v[89:92]
	;; [unrolled: 1-line block ×5, first 2 shown]
	s_waitcnt lgkmcnt(0)
	s_barrier
	buffer_gl0_inv
	s_clause 0x5
	global_load_dwordx4 v[161:164], v[0:1], off offset:960
	global_load_dwordx4 v[181:184], v[0:1], off offset:976
	;; [unrolled: 1-line block ×6, first 2 shown]
	ds_read_b128 v[81:84], v240 offset:4096
	s_clause 0x1
	global_load_dwordx4 v[157:160], v[0:1], off offset:1056
	global_load_dwordx4 v[85:88], v[0:1], off offset:1072
	ds_read_b128 v[89:92], v240 offset:36864
	s_waitcnt vmcnt(7) lgkmcnt(1)
	v_mul_f64 v[3:4], v[83:84], v[163:164]
	v_fma_f64 v[133:134], v[81:82], v[161:162], -v[3:4]
	v_mul_f64 v[3:4], v[81:82], v[163:164]
	v_fma_f64 v[135:136], v[83:84], v[161:162], v[3:4]
	ds_read_b128 v[81:84], v240 offset:8192
	s_waitcnt vmcnt(6) lgkmcnt(0)
	v_mul_f64 v[3:4], v[83:84], v[183:184]
	v_fma_f64 v[137:138], v[81:82], v[181:182], -v[3:4]
	v_mul_f64 v[3:4], v[81:82], v[183:184]
	v_fma_f64 v[139:140], v[83:84], v[181:182], v[3:4]
	ds_read_b128 v[81:84], v240 offset:12288
	s_waitcnt vmcnt(5) lgkmcnt(0)
	v_mul_f64 v[3:4], v[83:84], v[179:180]
	v_fma_f64 v[143:144], v[81:82], v[177:178], -v[3:4]
	v_mul_f64 v[3:4], v[81:82], v[179:180]
	v_add_f64 v[15:16], v[133:134], v[143:144]
	v_fma_f64 v[141:142], v[83:84], v[177:178], v[3:4]
	ds_read_b128 v[81:84], v240 offset:16384
	s_waitcnt vmcnt(4) lgkmcnt(0)
	v_mul_f64 v[3:4], v[83:84], v[175:176]
	v_add_f64 v[17:18], v[135:136], v[141:142]
	v_fma_f64 v[145:146], v[81:82], v[173:174], -v[3:4]
	v_mul_f64 v[3:4], v[81:82], v[175:176]
	v_fma_f64 v[147:148], v[83:84], v[173:174], v[3:4]
	ds_read_b128 v[81:84], v240 offset:20480
	s_waitcnt vmcnt(3) lgkmcnt(0)
	v_mul_f64 v[3:4], v[83:84], v[171:172]
	v_fma_f64 v[203:204], v[81:82], v[169:170], -v[3:4]
	v_mul_f64 v[3:4], v[81:82], v[171:172]
	v_add_f64 v[15:16], v[15:16], v[203:204]
	v_fma_f64 v[201:202], v[83:84], v[169:170], v[3:4]
	ds_read_b128 v[81:84], v240 offset:24576
	s_waitcnt vmcnt(2) lgkmcnt(0)
	v_mul_f64 v[3:4], v[83:84], v[167:168]
	v_add_f64 v[17:18], v[17:18], v[201:202]
	v_fma_f64 v[206:207], v[81:82], v[165:166], -v[3:4]
	v_mul_f64 v[3:4], v[81:82], v[167:168]
	v_add_f64 v[228:229], v[145:146], -v[206:207]
	v_fma_f64 v[208:209], v[83:84], v[165:166], v[3:4]
	ds_read_b128 v[81:84], v240 offset:28672
	s_waitcnt vmcnt(1) lgkmcnt(0)
	v_mul_f64 v[3:4], v[83:84], v[159:160]
	v_add_f64 v[46:47], v[147:148], -v[208:209]
	v_fma_f64 v[212:213], v[81:82], v[157:158], -v[3:4]
	v_mul_f64 v[3:4], v[81:82], v[159:160]
	v_add_f64 v[15:16], v[15:16], v[212:213]
	v_fma_f64 v[210:211], v[83:84], v[157:158], v[3:4]
	ds_read_b128 v[81:84], v240 offset:32768
	v_add_f64 v[34:35], v[203:204], -v[212:213]
	s_waitcnt vmcnt(0) lgkmcnt(0)
	v_mul_f64 v[3:4], v[83:84], v[87:88]
	v_add_f64 v[17:18], v[17:18], v[210:211]
	v_add_f64 v[30:31], v[201:202], v[210:211]
	v_add_f64 v[40:41], v[201:202], -v[210:211]
	v_fma_f64 v[214:215], v[81:82], v[85:86], -v[3:4]
	v_mul_f64 v[3:4], v[81:82], v[87:88]
	v_fma_f64 v[30:31], v[30:31], -0.5, v[135:136]
	v_add_f64 v[50:51], v[137:138], -v[214:215]
	v_fma_f64 v[216:217], v[83:84], v[85:86], v[3:4]
	global_load_dwordx4 v[81:84], v[0:1], off offset:1088
	v_add_f64 v[3:4], v[139:140], v[216:217]
	s_waitcnt vmcnt(0)
	v_mul_f64 v[0:1], v[91:92], v[83:84]
	v_fma_f64 v[220:221], v[89:90], v[81:82], -v[0:1]
	v_mul_f64 v[0:1], v[89:90], v[83:84]
	v_add_f64 v[15:16], v[15:16], v[220:221]
	v_fma_f64 v[218:219], v[91:92], v[81:82], v[0:1]
	ds_read_b128 v[89:92], v240 offset:6144
	v_add_f64 v[32:33], v[143:144], -v[220:221]
	s_waitcnt lgkmcnt(0)
	v_mul_f64 v[0:1], v[91:92], v[163:164]
	v_add_f64 v[17:18], v[17:18], v[218:219]
	v_add_f64 v[28:29], v[218:219], -v[210:211]
	v_fma_f64 v[36:37], v[32:33], s[16:17], v[30:31]
	v_add_f64 v[38:39], v[141:142], -v[218:219]
	v_fma_f64 v[97:98], v[89:90], v[161:162], -v[0:1]
	v_mul_f64 v[0:1], v[89:90], v[163:164]
	v_fma_f64 v[36:37], v[34:35], s[12:13], v[36:37]
	v_fma_f64 v[99:100], v[91:92], v[161:162], v[0:1]
	ds_read_b128 v[89:92], v240 offset:10240
	s_waitcnt lgkmcnt(0)
	v_mul_f64 v[0:1], v[91:92], v[183:184]
	v_fma_f64 v[103:104], v[89:90], v[181:182], -v[0:1]
	v_mul_f64 v[0:1], v[89:90], v[183:184]
	v_fma_f64 v[105:106], v[91:92], v[181:182], v[0:1]
	ds_read_b128 v[89:92], v240 offset:14336
	s_waitcnt lgkmcnt(0)
	v_mul_f64 v[0:1], v[91:92], v[179:180]
	v_fma_f64 v[107:108], v[89:90], v[177:178], -v[0:1]
	v_mul_f64 v[0:1], v[89:90], v[179:180]
	v_add_f64 v[24:25], v[97:98], v[107:108]
	v_fma_f64 v[101:102], v[91:92], v[177:178], v[0:1]
	ds_read_b128 v[89:92], v240 offset:18432
	s_waitcnt lgkmcnt(0)
	v_mul_f64 v[0:1], v[91:92], v[175:176]
	v_add_f64 v[26:27], v[99:100], v[101:102]
	v_fma_f64 v[109:110], v[89:90], v[173:174], -v[0:1]
	v_mul_f64 v[0:1], v[89:90], v[175:176]
	v_fma_f64 v[111:112], v[91:92], v[173:174], v[0:1]
	ds_read_b128 v[89:92], v240 offset:22528
	s_waitcnt lgkmcnt(0)
	v_mul_f64 v[0:1], v[91:92], v[171:172]
	v_fma_f64 v[115:116], v[89:90], v[169:170], -v[0:1]
	v_mul_f64 v[0:1], v[89:90], v[171:172]
	v_add_f64 v[24:25], v[24:25], v[115:116]
	v_fma_f64 v[113:114], v[91:92], v[169:170], v[0:1]
	ds_read_b128 v[89:92], v240 offset:26624
	s_waitcnt lgkmcnt(0)
	v_mul_f64 v[0:1], v[91:92], v[167:168]
	v_add_f64 v[26:27], v[26:27], v[113:114]
	;; [unrolled: 14-line block ×3, first 2 shown]
	v_fma_f64 v[127:128], v[89:90], v[85:86], -v[0:1]
	v_mul_f64 v[0:1], v[89:90], v[87:88]
	v_fma_f64 v[129:130], v[91:92], v[85:86], v[0:1]
	ds_read_b128 v[89:92], v240 offset:38912
	s_waitcnt lgkmcnt(0)
	v_mul_f64 v[0:1], v[91:92], v[83:84]
	v_fma_f64 v[131:132], v[89:90], v[81:82], -v[0:1]
	v_mul_f64 v[0:1], v[89:90], v[83:84]
	v_add_f64 v[24:25], v[24:25], v[131:132]
	v_fma_f64 v[125:126], v[91:92], v[81:82], v[0:1]
	v_add_f64 v[0:1], v[145:146], v[206:207]
	ds_read_b128 v[89:92], v240
	s_waitcnt lgkmcnt(0)
	v_add_f64 v[5:6], v[89:90], v[137:138]
	v_fma_f64 v[11:12], v[0:1], -0.5, v[89:90]
	v_add_f64 v[0:1], v[137:138], v[214:215]
	v_add_f64 v[13:14], v[91:92], v[139:140]
	v_fma_f64 v[3:4], v[3:4], -0.5, v[91:92]
	v_add_f64 v[26:27], v[26:27], v[125:126]
	;; [unrolled: 3-line block ×3, first 2 shown]
	v_add_f64 v[13:14], v[13:14], v[147:148]
	v_add_f64 v[5:6], v[5:6], v[206:207]
	v_fma_f64 v[0:1], v[0:1], -0.5, v[91:92]
	ds_read_b128 v[89:92], v240 offset:2048
	v_add_f64 v[13:14], v[13:14], v[208:209]
	s_waitcnt lgkmcnt(0)
	s_barrier
	buffer_gl0_inv
	v_add_f64 v[5:6], v[5:6], v[214:215]
	v_add_f64 v[19:20], v[89:90], v[103:104]
	;; [unrolled: 1-line block ×5, first 2 shown]
	v_add_f64 v[222:223], v[5:6], -v[15:16]
	v_add_f64 v[19:20], v[19:20], v[109:110]
	v_add_f64 v[21:22], v[21:22], v[111:112]
	;; [unrolled: 1-line block ×4, first 2 shown]
	v_add_f64 v[224:225], v[13:14], -v[17:18]
	v_add_f64 v[13:14], v[103:104], v[127:128]
	v_add_f64 v[15:16], v[111:112], v[121:122]
	;; [unrolled: 1-line block ×3, first 2 shown]
	ds_write_b128 v241, v[236:239]
	ds_write_b128 v241, v[222:225] offset:5120
	v_add_f64 v[19:20], v[19:20], v[119:120]
	v_add_f64 v[21:22], v[21:22], v[121:122]
	v_fma_f64 v[5:6], v[5:6], -0.5, v[89:90]
	v_fma_f64 v[13:14], v[13:14], -0.5, v[89:90]
	;; [unrolled: 1-line block ×4, first 2 shown]
	v_fma_f64 v[222:223], v[50:51], s[16:17], v[0:1]
	v_fma_f64 v[0:1], v[50:51], s[14:15], v[0:1]
	v_add_f64 v[19:20], v[19:20], v[127:128]
	v_add_f64 v[21:22], v[21:22], v[129:130]
	v_fma_f64 v[222:223], v[228:229], s[12:13], v[222:223]
	v_fma_f64 v[0:1], v[228:229], s[6:7], v[0:1]
	v_add_f64 v[89:90], v[19:20], v[24:25]
	v_add_f64 v[91:92], v[21:22], v[26:27]
	v_add_f64 v[93:94], v[19:20], -v[24:25]
	v_add_f64 v[95:96], v[21:22], -v[26:27]
	;; [unrolled: 1-line block ×6, first 2 shown]
	v_add_f64 v[19:20], v[19:20], v[21:22]
	v_add_f64 v[21:22], v[139:140], -v[147:148]
	v_add_f64 v[21:22], v[21:22], v[24:25]
	v_add_f64 v[24:25], v[143:144], -v[203:204]
	v_fma_f64 v[232:233], v[21:22], s[8:9], v[222:223]
	v_add_f64 v[24:25], v[24:25], v[26:27]
	v_add_f64 v[26:27], v[141:142], -v[201:202]
	v_fma_f64 v[0:1], v[21:22], s[8:9], v[0:1]
	v_add_f64 v[26:27], v[26:27], v[28:29]
	v_add_f64 v[28:29], v[203:204], v[212:213]
	v_fma_f64 v[36:37], v[26:27], s[8:9], v[36:37]
	v_fma_f64 v[28:29], v[28:29], -0.5, v[133:134]
	v_mul_f64 v[44:45], v[36:37], s[6:7]
	v_fma_f64 v[42:43], v[38:39], s[14:15], v[28:29]
	v_fma_f64 v[42:43], v[40:41], s[6:7], v[42:43]
	;; [unrolled: 1-line block ×4, first 2 shown]
	v_mul_f64 v[42:43], v[42:43], s[12:13]
	v_fma_f64 v[36:37], v[36:37], s[18:19], v[42:43]
	v_add_f64 v[42:43], v[139:140], -v[216:217]
	v_add_f64 v[224:225], v[232:233], v[36:37]
	v_fma_f64 v[48:49], v[42:43], s[14:15], v[11:12]
	v_add_f64 v[238:239], v[232:233], -v[36:37]
	v_add_f64 v[36:37], v[145:146], -v[137:138]
	v_add_f64 v[137:138], v[208:209], -v[216:217]
	v_add_f64 v[145:146], v[212:213], -v[220:221]
	v_fma_f64 v[11:12], v[42:43], s[16:17], v[11:12]
	v_fma_f64 v[48:49], v[46:47], s[6:7], v[48:49]
	;; [unrolled: 1-line block ×5, first 2 shown]
	v_add_f64 v[222:223], v[48:49], v[44:45]
	v_add_f64 v[236:237], v[48:49], -v[44:45]
	v_add_f64 v[48:49], v[147:148], -v[139:140]
	;; [unrolled: 1-line block ×3, first 2 shown]
	v_add_f64 v[141:142], v[141:142], v[218:219]
	v_add_f64 v[44:45], v[206:207], -v[214:215]
	v_add_f64 v[139:140], v[203:204], -v[143:144]
	v_add_f64 v[143:144], v[143:144], v[220:221]
	v_add_f64 v[201:202], v[210:211], -v[218:219]
	v_fma_f64 v[141:142], v[141:142], -0.5, v[135:136]
	v_add_f64 v[36:37], v[36:37], v[44:45]
	v_add_f64 v[44:45], v[48:49], v[137:138]
	v_fma_f64 v[48:49], v[143:144], -0.5, v[133:134]
	v_add_f64 v[143:144], v[139:140], v[145:146]
	v_add_f64 v[145:146], v[147:148], v[201:202]
	v_fma_f64 v[133:134], v[34:35], s[14:15], v[141:142]
	v_fma_f64 v[135:136], v[40:41], s[16:17], v[48:49]
	;; [unrolled: 1-line block ×6, first 2 shown]
	v_mul_f64 v[137:138], v[133:134], s[14:15]
	v_fma_f64 v[137:138], v[135:136], s[8:9], v[137:138]
	v_mul_f64 v[135:136], v[135:136], s[16:17]
	v_fma_f64 v[139:140], v[133:134], s[8:9], v[135:136]
	v_fma_f64 v[135:136], v[228:229], s[14:15], v[3:4]
	;; [unrolled: 1-line block ×7, first 2 shown]
	v_add_f64 v[50:51], v[115:116], -v[107:108]
	v_fma_f64 v[201:202], v[44:45], s[8:9], v[135:136]
	v_fma_f64 v[3:4], v[44:45], s[8:9], v[3:4]
	;; [unrolled: 1-line block ×5, first 2 shown]
	v_add_f64 v[135:136], v[201:202], v[139:140]
	v_add_f64 v[139:140], v[201:202], -v[139:140]
	v_fma_f64 v[44:45], v[38:39], s[12:13], v[44:45]
	v_fma_f64 v[48:49], v[32:33], s[6:7], v[48:49]
	v_add_f64 v[133:134], v[147:148], v[137:138]
	v_add_f64 v[137:138], v[147:148], -v[137:138]
	v_fma_f64 v[147:148], v[46:47], s[14:15], v[226:227]
	v_add_f64 v[46:47], v[109:110], -v[119:120]
	v_fma_f64 v[44:45], v[143:144], s[8:9], v[44:45]
	v_fma_f64 v[48:49], v[145:146], s[8:9], v[48:49]
	;; [unrolled: 1-line block ×3, first 2 shown]
	v_mul_f64 v[141:142], v[44:45], s[20:21]
	v_fma_f64 v[36:37], v[36:37], s[8:9], v[147:148]
	v_fma_f64 v[145:146], v[48:49], s[14:15], v[141:142]
	v_mul_f64 v[48:49], v[48:49], s[20:21]
	v_add_f64 v[141:142], v[36:37], v[145:146]
	v_fma_f64 v[44:45], v[44:45], s[16:17], v[48:49]
	v_add_f64 v[145:146], v[36:37], -v[145:146]
	v_add_f64 v[143:144], v[3:4], v[44:45]
	v_add_f64 v[147:148], v[3:4], -v[44:45]
	v_fma_f64 v[3:4], v[38:39], s[16:17], v[28:29]
	v_fma_f64 v[28:29], v[32:33], s[14:15], v[30:31]
	v_add_f64 v[32:33], v[101:102], -v[125:126]
	v_add_f64 v[44:45], v[103:104], -v[127:128]
	v_fma_f64 v[3:4], v[40:41], s[12:13], v[3:4]
	v_fma_f64 v[28:29], v[34:35], s[6:7], v[28:29]
	v_add_f64 v[34:35], v[113:114], -v[117:118]
	v_fma_f64 v[48:49], v[44:45], s[16:17], v[15:16]
	v_add_f64 v[40:41], v[111:112], -v[121:122]
	v_fma_f64 v[15:16], v[44:45], s[14:15], v[15:16]
	v_fma_f64 v[3:4], v[24:25], s[8:9], v[3:4]
	v_fma_f64 v[19:20], v[26:27], s[8:9], v[28:29]
	v_add_f64 v[24:25], v[113:114], v[117:118]
	v_add_f64 v[26:27], v[107:108], -v[131:132]
	v_add_f64 v[28:29], v[115:116], -v[123:124]
	v_fma_f64 v[48:49], v[46:47], s[12:13], v[48:49]
	v_fma_f64 v[15:16], v[46:47], s[6:7], v[15:16]
	v_mul_f64 v[21:22], v[3:4], s[22:23]
	v_fma_f64 v[24:25], v[24:25], -0.5, v[99:100]
	v_fma_f64 v[21:22], v[19:20], s[6:7], v[21:22]
	v_mul_f64 v[19:20], v[19:20], s[22:23]
	v_fma_f64 v[30:31], v[26:27], s[16:17], v[24:25]
	v_add_f64 v[201:202], v[11:12], v[21:22]
	v_fma_f64 v[3:4], v[3:4], s[12:13], v[19:20]
	v_add_f64 v[206:207], v[11:12], -v[21:22]
	v_add_f64 v[11:12], v[129:130], -v[121:122]
	;; [unrolled: 1-line block ×4, first 2 shown]
	v_fma_f64 v[30:31], v[28:29], s[12:13], v[30:31]
	v_add_f64 v[203:204], v[0:1], v[3:4]
	v_add_f64 v[208:209], v[0:1], -v[3:4]
	v_add_f64 v[0:1], v[103:104], -v[109:110]
	;; [unrolled: 1-line block ×3, first 2 shown]
	ds_write_b128 v241, v[222:225] offset:1024
	ds_write_b128 v241, v[133:136] offset:2048
	;; [unrolled: 1-line block ×8, first 2 shown]
	v_add_f64 v[0:1], v[0:1], v[3:4]
	v_add_f64 v[3:4], v[105:106], -v[111:112]
	v_add_f64 v[3:4], v[3:4], v[11:12]
	v_add_f64 v[11:12], v[107:108], -v[115:116]
	v_fma_f64 v[48:49], v[3:4], s[8:9], v[48:49]
	v_add_f64 v[11:12], v[11:12], v[19:20]
	v_add_f64 v[19:20], v[101:102], -v[113:114]
	v_fma_f64 v[3:4], v[3:4], s[8:9], v[15:16]
	v_add_f64 v[19:20], v[19:20], v[21:22]
	v_add_f64 v[21:22], v[115:116], v[123:124]
	v_fma_f64 v[30:31], v[19:20], s[8:9], v[30:31]
	v_fma_f64 v[21:22], v[21:22], -0.5, v[97:98]
	v_mul_f64 v[38:39], v[30:31], s[6:7]
	v_fma_f64 v[36:37], v[32:33], s[14:15], v[21:22]
	v_fma_f64 v[36:37], v[34:35], s[6:7], v[36:37]
	;; [unrolled: 1-line block ×4, first 2 shown]
	v_mul_f64 v[36:37], v[36:37], s[12:13]
	v_fma_f64 v[30:31], v[30:31], s[18:19], v[36:37]
	v_add_f64 v[36:37], v[105:106], -v[129:130]
	v_add_f64 v[212:213], v[48:49], v[30:31]
	v_fma_f64 v[42:43], v[36:37], s[14:15], v[5:6]
	v_add_f64 v[216:217], v[48:49], -v[30:31]
	v_add_f64 v[30:31], v[109:110], -v[103:104]
	v_add_f64 v[103:104], v[107:108], v[131:132]
	v_add_f64 v[107:108], v[113:114], -v[101:102]
	v_add_f64 v[101:102], v[101:102], v[125:126]
	v_add_f64 v[48:49], v[121:122], -v[129:130]
	v_add_f64 v[109:110], v[117:118], -v[125:126]
	v_fma_f64 v[5:6], v[36:37], s[16:17], v[5:6]
	v_fma_f64 v[42:43], v[40:41], s[6:7], v[42:43]
	;; [unrolled: 1-line block ×5, first 2 shown]
	v_add_f64 v[210:211], v[42:43], v[38:39]
	v_add_f64 v[214:215], v[42:43], -v[38:39]
	v_add_f64 v[38:39], v[119:120], -v[127:128]
	v_add_f64 v[42:43], v[111:112], -v[105:106]
	v_fma_f64 v[111:112], v[101:102], -0.5, v[99:100]
	v_add_f64 v[105:106], v[123:124], -v[131:132]
	v_add_f64 v[30:31], v[30:31], v[38:39]
	v_add_f64 v[38:39], v[42:43], v[48:49]
	v_fma_f64 v[42:43], v[103:104], -0.5, v[97:98]
	v_fma_f64 v[97:98], v[28:29], s[14:15], v[111:112]
	v_add_f64 v[48:49], v[50:51], v[105:106]
	v_add_f64 v[50:51], v[107:108], v[109:110]
	v_fma_f64 v[99:100], v[34:35], s[16:17], v[42:43]
	v_fma_f64 v[97:98], v[26:27], s[12:13], v[97:98]
	;; [unrolled: 1-line block ×5, first 2 shown]
	v_mul_f64 v[101:102], v[97:98], s[14:15]
	v_fma_f64 v[101:102], v[99:100], s[8:9], v[101:102]
	v_mul_f64 v[99:100], v[99:100], s[16:17]
	v_fma_f64 v[103:104], v[97:98], s[8:9], v[99:100]
	v_fma_f64 v[97:98], v[40:41], s[16:17], v[13:14]
	;; [unrolled: 1-line block ×15, first 2 shown]
	v_add_f64 v[97:98], v[105:106], v[101:102]
	v_add_f64 v[101:102], v[105:106], -v[101:102]
	v_fma_f64 v[30:31], v[32:33], s[12:13], v[30:31]
	v_add_f64 v[99:100], v[107:108], v[103:104]
	v_add_f64 v[103:104], v[107:108], -v[103:104]
	v_fma_f64 v[38:39], v[26:27], s[6:7], v[38:39]
	v_fma_f64 v[30:31], v[48:49], s[8:9], v[30:31]
	;; [unrolled: 1-line block ×3, first 2 shown]
	v_mul_f64 v[42:43], v[30:31], s[20:21]
	v_fma_f64 v[42:43], v[38:39], s[14:15], v[42:43]
	v_mul_f64 v[38:39], v[38:39], s[20:21]
	v_add_f64 v[105:106], v[13:14], v[42:43]
	v_fma_f64 v[30:31], v[30:31], s[16:17], v[38:39]
	v_add_f64 v[109:110], v[13:14], -v[42:43]
	v_fma_f64 v[13:14], v[32:33], s[16:17], v[21:22]
	v_add_f64 v[107:108], v[17:18], v[30:31]
	v_add_f64 v[111:112], v[17:18], -v[30:31]
	v_fma_f64 v[17:18], v[26:27], s[14:15], v[24:25]
	v_fma_f64 v[13:14], v[34:35], s[12:13], v[13:14]
	;; [unrolled: 1-line block ×5, first 2 shown]
	v_mul_f64 v[13:14], v[11:12], s[22:23]
	v_fma_f64 v[13:14], v[5:6], s[6:7], v[13:14]
	v_mul_f64 v[5:6], v[5:6], s[22:23]
	v_add_f64 v[113:114], v[0:1], v[13:14]
	v_fma_f64 v[5:6], v[11:12], s[12:13], v[5:6]
	v_add_f64 v[117:118], v[0:1], -v[13:14]
	v_lshrrev_b32_e32 v0, 6, v242
	v_mul_u32_u24_e32 v0, 0x280, v0
	v_or_b32_e32 v0, v0, v2
	v_lshlrev_b32_e32 v242, 4, v0
	v_mad_u64_u32 v[0:1], null, v247, 48, s[10:11]
	v_add_f64 v[115:116], v[3:4], v[5:6]
	v_add_f64 v[119:120], v[3:4], -v[5:6]
	ds_write_b128 v242, v[89:92]
	ds_write_b128 v242, v[210:213] offset:1024
	ds_write_b128 v242, v[97:100] offset:2048
	;; [unrolled: 1-line block ×9, first 2 shown]
	v_add_co_u32 v2, vcc_lo, 0x2000, v0
	v_add_co_ci_u32_e32 v3, vcc_lo, 0, v1, vcc_lo
	s_waitcnt lgkmcnt(0)
	s_barrier
	buffer_gl0_inv
	global_load_dwordx4 v[89:92], v[2:3], off offset:1984
	ds_read_b128 v[93:96], v240 offset:10240
	ds_read_b128 v[105:108], v240 offset:12288
	;; [unrolled: 1-line block ×13, first 2 shown]
	s_waitcnt vmcnt(0) lgkmcnt(12)
	v_mul_f64 v[2:3], v[95:96], v[91:92]
	v_fma_f64 v[201:202], v[93:94], v[89:90], -v[2:3]
	v_mul_f64 v[2:3], v[93:94], v[91:92]
	v_fma_f64 v[203:204], v[95:96], v[89:90], v[2:3]
	v_add_co_u32 v2, vcc_lo, 0x27c0, v0
	v_add_co_ci_u32_e32 v3, vcc_lo, 0, v1, vcc_lo
	v_add_co_u32 v13, vcc_lo, 0x3800, v0
	v_add_co_ci_u32_e32 v14, vcc_lo, 0, v1, vcc_lo
	global_load_dwordx4 v[93:96], v[2:3], off offset:16
	s_waitcnt vmcnt(0) lgkmcnt(10)
	v_mul_f64 v[4:5], v[99:100], v[95:96]
	v_mul_f64 v[6:7], v[97:98], v[95:96]
	v_fma_f64 v[4:5], v[97:98], v[93:94], -v[4:5]
	v_fma_f64 v[6:7], v[99:100], v[93:94], v[6:7]
	global_load_dwordx4 v[97:100], v[2:3], off offset:32
	s_waitcnt vmcnt(0) lgkmcnt(8)
	v_mul_f64 v[2:3], v[103:104], v[99:100]
	v_mul_f64 v[11:12], v[101:102], v[99:100]
	v_fma_f64 v[2:3], v[101:102], v[97:98], -v[2:3]
	v_fma_f64 v[11:12], v[103:104], v[97:98], v[11:12]
	global_load_dwordx4 v[101:104], v[13:14], off offset:1984
	v_add_f64 v[58:59], v[201:202], -v[2:3]
	v_add_f64 v[11:12], v[203:204], -v[11:12]
	s_waitcnt vmcnt(0)
	v_mul_f64 v[13:14], v[107:108], v[103:104]
	v_fma_f64 v[206:207], v[105:106], v[101:102], -v[13:14]
	v_mul_f64 v[13:14], v[105:106], v[103:104]
	v_fma_f64 v[208:209], v[107:108], v[101:102], v[13:14]
	v_add_co_u32 v13, vcc_lo, 0x3fc0, v0
	v_add_co_ci_u32_e32 v14, vcc_lo, 0, v1, vcc_lo
	ds_read_b128 v[105:108], v240 offset:22528
	v_add_co_u32 v21, vcc_lo, 0x5000, v0
	global_load_dwordx4 v[109:112], v[13:14], off offset:16
	v_add_co_ci_u32_e32 v22, vcc_lo, 0, v1, vcc_lo
	v_add_co_u32 v26, vcc_lo, 0x57c0, v0
	v_add_co_ci_u32_e32 v27, vcc_lo, 0, v1, vcc_lo
	v_add_co_u32 v34, vcc_lo, 0x6800, v0
	v_add_co_ci_u32_e32 v35, vcc_lo, 0, v1, vcc_lo
	global_load_dwordx4 v[121:124], v[26:27], off offset:16
	v_add_co_u32 v38, vcc_lo, 0x6fc0, v0
	v_add_co_ci_u32_e32 v39, vcc_lo, 0, v1, vcc_lo
	v_add_co_u32 v46, vcc_lo, 0x8000, v0
	v_add_co_ci_u32_e32 v47, vcc_lo, 0, v1, vcc_lo
	;; [unrolled: 2-line block ×3, first 2 shown]
	s_waitcnt vmcnt(1) lgkmcnt(0)
	v_mul_f64 v[15:16], v[107:108], v[111:112]
	v_mul_f64 v[17:18], v[105:106], v[111:112]
	v_fma_f64 v[15:16], v[105:106], v[109:110], -v[15:16]
	v_fma_f64 v[17:18], v[107:108], v[109:110], v[17:18]
	global_load_dwordx4 v[105:108], v[13:14], off offset:32
	s_waitcnt vmcnt(0)
	v_mul_f64 v[13:14], v[115:116], v[107:108]
	v_mul_f64 v[19:20], v[113:114], v[107:108]
	v_fma_f64 v[13:14], v[113:114], v[105:106], -v[13:14]
	v_fma_f64 v[19:20], v[115:116], v[105:106], v[19:20]
	global_load_dwordx4 v[113:116], v[21:22], off offset:1984
	v_add_f64 v[13:14], v[206:207], -v[13:14]
	s_waitcnt vmcnt(0)
	v_mul_f64 v[21:22], v[119:120], v[115:116]
	v_mul_f64 v[24:25], v[117:118], v[115:116]
	v_fma_f64 v[21:22], v[117:118], v[113:114], -v[21:22]
	v_fma_f64 v[24:25], v[119:120], v[113:114], v[24:25]
	ds_read_b128 v[117:120], v240 offset:24576
	s_waitcnt lgkmcnt(0)
	v_mul_f64 v[28:29], v[119:120], v[123:124]
	v_mul_f64 v[30:31], v[117:118], v[123:124]
	v_fma_f64 v[28:29], v[117:118], v[121:122], -v[28:29]
	v_fma_f64 v[30:31], v[119:120], v[121:122], v[30:31]
	global_load_dwordx4 v[117:120], v[26:27], off offset:32
	s_waitcnt vmcnt(0)
	v_mul_f64 v[26:27], v[127:128], v[119:120]
	v_mul_f64 v[32:33], v[125:126], v[119:120]
	v_fma_f64 v[26:27], v[125:126], v[117:118], -v[26:27]
	v_fma_f64 v[32:33], v[127:128], v[117:118], v[32:33]
	global_load_dwordx4 v[125:128], v[34:35], off offset:1984
	v_add_f64 v[26:27], v[21:22], -v[26:27]
	s_waitcnt vmcnt(0)
	v_mul_f64 v[34:35], v[131:132], v[127:128]
	v_mul_f64 v[36:37], v[129:130], v[127:128]
	v_fma_f64 v[34:35], v[129:130], v[125:126], -v[34:35]
	v_fma_f64 v[36:37], v[131:132], v[125:126], v[36:37]
	global_load_dwordx4 v[129:132], v[38:39], off offset:16
	s_waitcnt vmcnt(0)
	v_mul_f64 v[40:41], v[135:136], v[131:132]
	v_mul_f64 v[42:43], v[133:134], v[131:132]
	v_fma_f64 v[40:41], v[133:134], v[129:130], -v[40:41]
	v_fma_f64 v[42:43], v[135:136], v[129:130], v[42:43]
	global_load_dwordx4 v[133:136], v[38:39], off offset:32
	;; [unrolled: 6-line block ×3, first 2 shown]
	v_add_f64 v[38:39], v[34:35], -v[38:39]
	s_waitcnt vmcnt(0)
	v_mul_f64 v[46:47], v[143:144], v[139:140]
	v_mul_f64 v[48:49], v[141:142], v[139:140]
	v_fma_f64 v[46:47], v[141:142], v[137:138], -v[46:47]
	v_fma_f64 v[48:49], v[143:144], v[137:138], v[48:49]
	global_load_dwordx4 v[141:144], v[0:1], off offset:16
	s_waitcnt vmcnt(0)
	v_mul_f64 v[50:51], v[147:148], v[143:144]
	v_fma_f64 v[50:51], v[145:146], v[141:142], -v[50:51]
	v_mul_f64 v[145:146], v[145:146], v[143:144]
	v_fma_f64 v[226:227], v[147:148], v[141:142], v[145:146]
	global_load_dwordx4 v[145:148], v[0:1], off offset:32
	s_waitcnt vmcnt(0)
	v_mul_f64 v[0:1], v[212:213], v[147:148]
	v_fma_f64 v[0:1], v[210:211], v[145:146], -v[0:1]
	v_mul_f64 v[210:211], v[210:211], v[147:148]
	v_fma_f64 v[228:229], v[212:213], v[145:146], v[210:211]
	ds_read_b128 v[210:213], v240
	s_waitcnt lgkmcnt(0)
	v_add_f64 v[4:5], v[210:211], -v[4:5]
	v_add_f64 v[6:7], v[212:213], -v[6:7]
	v_fma_f64 v[232:233], v[210:211], 2.0, -v[4:5]
	v_fma_f64 v[9:10], v[212:213], 2.0, -v[6:7]
	v_add_f64 v[210:211], v[4:5], -v[11:12]
	v_add_f64 v[212:213], v[6:7], v[58:59]
	v_fma_f64 v[11:12], v[203:204], 2.0, -v[11:12]
	v_fma_f64 v[214:215], v[4:5], 2.0, -v[210:211]
	;; [unrolled: 1-line block ×3, first 2 shown]
	ds_write_b128 v240, v[210:213] offset:30720
	ds_read_b128 v[210:213], v240 offset:2048
	v_add_f64 v[203:204], v[9:10], -v[11:12]
	s_waitcnt lgkmcnt(0)
	v_add_f64 v[2:3], v[210:211], -v[15:16]
	v_add_f64 v[4:5], v[212:213], -v[17:18]
	v_add_f64 v[17:18], v[208:209], -v[19:20]
	v_fma_f64 v[6:7], v[210:211], 2.0, -v[2:3]
	v_fma_f64 v[15:16], v[212:213], 2.0, -v[4:5]
	v_add_f64 v[210:211], v[2:3], -v[17:18]
	v_add_f64 v[212:213], v[4:5], v[13:14]
	v_fma_f64 v[218:219], v[2:3], 2.0, -v[210:211]
	v_fma_f64 v[220:221], v[4:5], 2.0, -v[212:213]
	ds_write_b128 v240, v[210:213] offset:32768
	ds_read_b128 v[210:213], v240 offset:4096
	s_waitcnt lgkmcnt(0)
	v_add_f64 v[2:3], v[210:211], -v[28:29]
	v_add_f64 v[4:5], v[212:213], -v[30:31]
	v_add_f64 v[30:31], v[24:25], -v[32:33]
	v_fma_f64 v[19:20], v[210:211], 2.0, -v[2:3]
	v_fma_f64 v[28:29], v[212:213], 2.0, -v[4:5]
	v_add_f64 v[210:211], v[2:3], -v[30:31]
	v_add_f64 v[212:213], v[4:5], v[26:27]
	v_fma_f64 v[222:223], v[2:3], 2.0, -v[210:211]
	v_fma_f64 v[224:225], v[4:5], 2.0, -v[212:213]
	ds_write_b128 v240, v[210:213] offset:34816
	ds_read_b128 v[210:213], v240 offset:6144
	;; [unrolled: 12-line block ×3, first 2 shown]
	s_waitcnt lgkmcnt(0)
	v_add_f64 v[2:3], v[210:211], -v[50:51]
	v_add_f64 v[4:5], v[212:213], -v[226:227]
	;; [unrolled: 1-line block ×4, first 2 shown]
	v_fma_f64 v[44:45], v[210:211], 2.0, -v[2:3]
	v_fma_f64 v[50:51], v[212:213], 2.0, -v[4:5]
	v_add_f64 v[210:211], v[2:3], -v[226:227]
	v_add_f64 v[212:213], v[4:5], v[228:229]
	ds_write_b128 v240, v[210:213] offset:38912
	ds_write_b128 v240, v[214:217] offset:10240
	v_fma_f64 v[0:1], v[2:3], 2.0, -v[210:211]
	v_fma_f64 v[2:3], v[4:5], 2.0, -v[212:213]
	;; [unrolled: 1-line block ×5, first 2 shown]
	v_add_f64 v[201:202], v[232:233], -v[4:5]
	v_fma_f64 v[4:5], v[206:207], 2.0, -v[13:14]
	ds_write_b128 v240, v[201:204] offset:20480
	ds_write_b128 v240, v[218:221] offset:12288
	v_fma_f64 v[210:211], v[232:233], 2.0, -v[201:202]
	v_add_f64 v[201:202], v[6:7], -v[4:5]
	v_add_f64 v[203:204], v[15:16], -v[9:10]
	v_fma_f64 v[4:5], v[21:22], 2.0, -v[26:27]
	ds_write_b128 v240, v[201:204] offset:22528
	ds_write_b128 v240, v[222:225] offset:14336
	v_fma_f64 v[206:207], v[6:7], 2.0, -v[201:202]
	v_fma_f64 v[6:7], v[24:25], 2.0, -v[30:31]
	;; [unrolled: 1-line block ×3, first 2 shown]
	v_add_f64 v[201:202], v[19:20], -v[4:5]
	v_fma_f64 v[4:5], v[34:35], 2.0, -v[38:39]
	v_add_f64 v[203:204], v[28:29], -v[6:7]
	v_fma_f64 v[6:7], v[36:37], 2.0, -v[42:43]
	v_fma_f64 v[214:215], v[19:20], 2.0, -v[201:202]
	ds_write_b128 v240, v[201:204] offset:24576
	ds_write_b128 v240, v[236:239] offset:16384
	v_fma_f64 v[216:217], v[28:29], 2.0, -v[203:204]
	v_add_f64 v[201:202], v[32:33], -v[4:5]
	v_add_f64 v[203:204], v[40:41], -v[6:7]
	ds_write_b128 v240, v[201:204] offset:26624
	ds_write_b128 v240, v[0:3] offset:18432
	v_fma_f64 v[0:1], v[46:47], 2.0, -v[228:229]
	v_fma_f64 v[2:3], v[48:49], 2.0, -v[226:227]
	;; [unrolled: 1-line block ×4, first 2 shown]
	v_add_f64 v[0:1], v[44:45], -v[0:1]
	v_add_f64 v[2:3], v[50:51], -v[2:3]
	v_fma_f64 v[201:202], v[44:45], 2.0, -v[0:1]
	v_fma_f64 v[203:204], v[50:51], 2.0, -v[2:3]
	ds_write_b128 v240, v[0:3] offset:28672
	ds_write_b128 v240, v[210:213]
	ds_write_b128 v240, v[206:209] offset:2048
	ds_write_b128 v240, v[214:217] offset:4096
	;; [unrolled: 1-line block ×4, first 2 shown]
	s_waitcnt lgkmcnt(0)
	s_barrier
	buffer_gl0_inv
	global_load_dwordx4 v[0:3], v240, s[24:25]
	ds_read_b128 v[201:204], v240
	ds_read_b128 v[218:221], v240 offset:2048
	ds_read_b128 v[206:209], v240 offset:10240
	;; [unrolled: 1-line block ×16, first 2 shown]
	s_waitcnt vmcnt(0) lgkmcnt(16)
	v_mul_f64 v[4:5], v[203:204], v[2:3]
	v_mul_f64 v[2:3], v[201:202], v[2:3]
	v_fma_f64 v[201:202], v[201:202], v[0:1], -v[4:5]
	v_fma_f64 v[203:204], v[203:204], v[0:1], v[2:3]
	global_load_dwordx4 v[0:3], v231, s[24:25]
	s_waitcnt vmcnt(0) lgkmcnt(14)
	v_mul_f64 v[4:5], v[208:209], v[2:3]
	v_mul_f64 v[2:3], v[206:207], v[2:3]
	v_fma_f64 v[206:207], v[206:207], v[0:1], -v[4:5]
	v_fma_f64 v[208:209], v[208:209], v[0:1], v[2:3]
	v_or_b32_e32 v0, 0x5000, v240
	global_load_dwordx4 v[0:3], v0, s[24:25]
	s_waitcnt vmcnt(0) lgkmcnt(12)
	v_mul_f64 v[4:5], v[212:213], v[2:3]
	v_mul_f64 v[2:3], v[210:211], v[2:3]
	v_fma_f64 v[210:211], v[210:211], v[0:1], -v[4:5]
	v_fma_f64 v[212:213], v[212:213], v[0:1], v[2:3]
	v_or_b32_e32 v0, 0x7800, v240
	global_load_dwordx4 v[0:3], v0, s[24:25]
	s_waitcnt vmcnt(0) lgkmcnt(10)
	v_mul_f64 v[4:5], v[216:217], v[2:3]
	v_mul_f64 v[2:3], v[214:215], v[2:3]
	v_fma_f64 v[214:215], v[214:215], v[0:1], -v[4:5]
	v_fma_f64 v[216:217], v[216:217], v[0:1], v[2:3]
	global_load_dwordx4 v[0:3], v234, s[24:25]
	ds_read_b128 v[231:234], v240 offset:32768
	s_waitcnt vmcnt(0)
	v_mul_f64 v[4:5], v[220:221], v[2:3]
	v_mul_f64 v[2:3], v[218:219], v[2:3]
	v_fma_f64 v[218:219], v[218:219], v[0:1], -v[4:5]
	v_fma_f64 v[220:221], v[220:221], v[0:1], v[2:3]
	v_or_b32_e32 v0, 0x3000, v240
	global_load_dwordx4 v[0:3], v0, s[24:25]
	s_waitcnt vmcnt(0) lgkmcnt(9)
	v_mul_f64 v[4:5], v[224:225], v[2:3]
	v_mul_f64 v[2:3], v[222:223], v[2:3]
	v_fma_f64 v[222:223], v[222:223], v[0:1], -v[4:5]
	v_fma_f64 v[224:225], v[224:225], v[0:1], v[2:3]
	v_or_b32_e32 v0, 0x5800, v240
	global_load_dwordx4 v[0:3], v0, s[24:25]
	s_waitcnt vmcnt(0)
	v_mul_f64 v[4:5], v[238:239], v[2:3]
	v_mul_f64 v[2:3], v[236:237], v[2:3]
	v_fma_f64 v[236:237], v[236:237], v[0:1], -v[4:5]
	v_fma_f64 v[238:239], v[238:239], v[0:1], v[2:3]
	v_or_b32_e32 v0, 0x8000, v240
	global_load_dwordx4 v[0:3], v0, s[24:25]
	s_waitcnt vmcnt(0) lgkmcnt(0)
	v_mul_f64 v[4:5], v[233:234], v[2:3]
	v_mul_f64 v[2:3], v[231:232], v[2:3]
	v_fma_f64 v[231:232], v[231:232], v[0:1], -v[4:5]
	v_fma_f64 v[233:234], v[233:234], v[0:1], v[2:3]
	buffer_load_dword v0, off, s[28:31], 0 offset:216 ; 4-byte Folded Reload
	s_waitcnt vmcnt(0)
	global_load_dwordx4 v[4:7], v0, s[24:25]
	ds_read_b128 v[0:3], v240 offset:4096
	s_waitcnt vmcnt(0) lgkmcnt(0)
	v_mul_f64 v[9:10], v[2:3], v[6:7]
	v_mul_f64 v[6:7], v[0:1], v[6:7]
	v_fma_f64 v[15:16], v[0:1], v[4:5], -v[9:10]
	v_or_b32_e32 v0, 0x3800, v240
	v_fma_f64 v[17:18], v[2:3], v[4:5], v[6:7]
	global_load_dwordx4 v[4:7], v0, s[24:25]
	s_waitcnt vmcnt(0)
	v_mul_f64 v[0:1], v[228:229], v[6:7]
	v_mul_f64 v[2:3], v[226:227], v[6:7]
	v_fma_f64 v[226:227], v[226:227], v[4:5], -v[0:1]
	v_or_b32_e32 v0, 0x6000, v240
	v_fma_f64 v[228:229], v[228:229], v[4:5], v[2:3]
	global_load_dwordx4 v[4:7], v0, s[24:25]
	s_waitcnt vmcnt(0)
	v_mul_f64 v[0:1], v[13:14], v[6:7]
	v_mul_f64 v[2:3], v[11:12], v[6:7]
	v_fma_f64 v[11:12], v[11:12], v[4:5], -v[0:1]
	v_or_b32_e32 v0, 0x8800, v240
	v_fma_f64 v[13:14], v[13:14], v[4:5], v[2:3]
	global_load_dwordx4 v[4:7], v0, s[24:25]
	ds_read_b128 v[0:3], v240 offset:34816
	s_waitcnt vmcnt(0) lgkmcnt(0)
	v_mul_f64 v[9:10], v[2:3], v[6:7]
	v_mul_f64 v[6:7], v[0:1], v[6:7]
	v_fma_f64 v[0:1], v[0:1], v[4:5], -v[9:10]
	v_fma_f64 v[2:3], v[2:3], v[4:5], v[6:7]
	buffer_load_dword v4, off, s[28:31], 0 offset:224 ; 4-byte Folded Reload
	s_waitcnt vmcnt(0)
	global_load_dwordx4 v[4:7], v4, s[24:25]
	s_waitcnt vmcnt(0)
	v_mul_f64 v[9:10], v[21:22], v[6:7]
	v_mul_f64 v[6:7], v[19:20], v[6:7]
	v_fma_f64 v[19:20], v[19:20], v[4:5], -v[9:10]
	v_fma_f64 v[21:22], v[21:22], v[4:5], v[6:7]
	v_or_b32_e32 v4, 0x4000, v240
	global_load_dwordx4 v[4:7], v4, s[24:25]
	s_waitcnt vmcnt(0)
	v_mul_f64 v[9:10], v[26:27], v[6:7]
	v_mul_f64 v[6:7], v[24:25], v[6:7]
	v_fma_f64 v[24:25], v[24:25], v[4:5], -v[9:10]
	v_fma_f64 v[26:27], v[26:27], v[4:5], v[6:7]
	v_or_b32_e32 v4, 0x6800, v240
	;; [unrolled: 7-line block ×3, first 2 shown]
	global_load_dwordx4 v[4:7], v4, s[24:25]
	s_waitcnt vmcnt(0)
	v_mul_f64 v[9:10], v[34:35], v[6:7]
	v_mul_f64 v[6:7], v[32:33], v[6:7]
	v_fma_f64 v[32:33], v[32:33], v[4:5], -v[9:10]
	v_fma_f64 v[34:35], v[34:35], v[4:5], v[6:7]
	buffer_load_dword v4, off, s[28:31], 0 offset:220 ; 4-byte Folded Reload
	s_waitcnt vmcnt(0)
	global_load_dwordx4 v[4:7], v4, s[24:25]
	s_waitcnt vmcnt(0)
	v_mul_f64 v[9:10], v[38:39], v[6:7]
	v_mul_f64 v[6:7], v[36:37], v[6:7]
	v_fma_f64 v[36:37], v[36:37], v[4:5], -v[9:10]
	v_fma_f64 v[38:39], v[38:39], v[4:5], v[6:7]
	v_or_b32_e32 v4, 0x4800, v240
	global_load_dwordx4 v[4:7], v4, s[24:25]
	s_waitcnt vmcnt(0)
	v_mul_f64 v[9:10], v[42:43], v[6:7]
	v_mul_f64 v[6:7], v[40:41], v[6:7]
	v_fma_f64 v[40:41], v[40:41], v[4:5], -v[9:10]
	v_fma_f64 v[42:43], v[42:43], v[4:5], v[6:7]
	v_or_b32_e32 v4, 0x7000, v240
	global_load_dwordx4 v[4:7], v4, s[24:25]
	s_waitcnt vmcnt(0)
	v_mul_f64 v[9:10], v[46:47], v[6:7]
	v_mul_f64 v[6:7], v[44:45], v[6:7]
	v_fma_f64 v[44:45], v[44:45], v[4:5], -v[9:10]
	v_fma_f64 v[46:47], v[46:47], v[4:5], v[6:7]
	global_load_dwordx4 v[4:7], v60, s[24:25]
	s_waitcnt vmcnt(0)
	v_mul_f64 v[9:10], v[50:51], v[6:7]
	v_mul_f64 v[6:7], v[48:49], v[6:7]
	v_fma_f64 v[48:49], v[48:49], v[4:5], -v[9:10]
	v_fma_f64 v[50:51], v[50:51], v[4:5], v[6:7]
	ds_write_b128 v240, v[201:204]
	ds_write_b128 v240, v[206:209] offset:10240
	ds_write_b128 v240, v[210:213] offset:20480
	;; [unrolled: 1-line block ×19, first 2 shown]
	s_waitcnt lgkmcnt(0)
	s_barrier
	buffer_gl0_inv
	ds_read_b128 v[0:3], v240 offset:32768
	ds_read_b128 v[4:7], v240 offset:12288
	s_waitcnt lgkmcnt(0)
	v_add_f64 v[9:10], v[6:7], -v[2:3]
	v_add_f64 v[15:16], v[4:5], -v[0:1]
	ds_read_b128 v[0:3], v240 offset:2048
	ds_read_b128 v[11:14], v240 offset:22528
	s_waitcnt lgkmcnt(0)
	v_add_f64 v[11:12], v[0:1], -v[11:12]
	v_add_f64 v[13:14], v[2:3], -v[13:14]
	v_fma_f64 v[58:59], v[4:5], 2.0, -v[15:16]
	v_fma_f64 v[226:227], v[6:7], 2.0, -v[9:10]
	v_add_f64 v[4:5], v[11:12], v[9:10]
	v_add_f64 v[6:7], v[13:14], -v[15:16]
	v_fma_f64 v[9:10], v[0:1], 2.0, -v[11:12]
	v_fma_f64 v[228:229], v[2:3], 2.0, -v[13:14]
	;; [unrolled: 1-line block ×4, first 2 shown]
	ds_read_b128 v[11:14], v240 offset:14336
	ds_read_b128 v[15:18], v240 offset:34816
	ds_read_b128 v[19:22], v240
	ds_read_b128 v[24:27], v240 offset:20480
	ds_read_b128 v[28:31], v240 offset:4096
	;; [unrolled: 1-line block ×13, first 2 shown]
	s_waitcnt lgkmcnt(0)
	s_barrier
	buffer_gl0_inv
	ds_write_b128 v205, v[4:7] offset:48
	ds_write_b128 v205, v[0:3] offset:16
	v_add_f64 v[0:1], v[9:10], -v[58:59]
	v_add_f64 v[2:3], v[228:229], -v[226:227]
	v_fma_f64 v[4:5], v[9:10], 2.0, -v[0:1]
	v_fma_f64 v[6:7], v[228:229], 2.0, -v[2:3]
	ds_write_b128 v205, v[0:3] offset:32
	v_add_f64 v[2:3], v[11:12], -v[15:16]
	v_add_f64 v[0:1], v[13:14], -v[17:18]
	;; [unrolled: 1-line block ×4, first 2 shown]
	v_fma_f64 v[17:18], v[11:12], 2.0, -v[2:3]
	v_fma_f64 v[36:37], v[13:14], 2.0, -v[0:1]
	v_add_f64 v[0:1], v[9:10], v[0:1]
	v_add_f64 v[2:3], v[15:16], -v[2:3]
	v_fma_f64 v[28:29], v[28:29], 2.0, -v[9:10]
	v_fma_f64 v[30:31], v[30:31], 2.0, -v[15:16]
	;; [unrolled: 1-line block ×4, first 2 shown]
	ds_write_b128 v230, v[0:3] offset:48
	ds_write_b128 v230, v[11:14] offset:16
	v_add_f64 v[0:1], v[28:29], -v[17:18]
	v_add_f64 v[2:3], v[30:31], -v[36:37]
	v_add_f64 v[9:10], v[32:33], -v[40:41]
	v_add_f64 v[17:18], v[34:35], -v[42:43]
	v_fma_f64 v[11:12], v[28:29], 2.0, -v[0:1]
	v_fma_f64 v[13:14], v[30:31], 2.0, -v[2:3]
	ds_write_b128 v230, v[0:3] offset:32
	v_add_f64 v[2:3], v[201:202], -v[218:219]
	v_add_f64 v[0:1], v[203:204], -v[220:221]
	v_fma_f64 v[32:33], v[32:33], 2.0, -v[9:10]
	v_fma_f64 v[34:35], v[34:35], 2.0, -v[17:18]
	v_fma_f64 v[28:29], v[201:202], 2.0, -v[2:3]
	v_fma_f64 v[30:31], v[203:204], 2.0, -v[0:1]
	v_add_f64 v[0:1], v[9:10], v[0:1]
	v_add_f64 v[2:3], v[17:18], -v[2:3]
	v_fma_f64 v[15:16], v[9:10], 2.0, -v[0:1]
	v_fma_f64 v[17:18], v[17:18], 2.0, -v[2:3]
	ds_write_b128 v235, v[0:3] offset:48
	ds_write_b128 v235, v[15:18] offset:16
	v_add_f64 v[0:1], v[32:33], -v[28:29]
	v_add_f64 v[2:3], v[34:35], -v[30:31]
	v_add_f64 v[9:10], v[48:49], -v[214:215]
	v_add_f64 v[30:31], v[50:51], -v[216:217]
	v_fma_f64 v[15:16], v[32:33], 2.0, -v[0:1]
	v_fma_f64 v[17:18], v[34:35], 2.0, -v[2:3]
	ds_write_b128 v235, v[0:3] offset:32
	v_add_f64 v[2:3], v[206:207], -v[222:223]
	v_add_f64 v[0:1], v[208:209], -v[224:225]
	v_fma_f64 v[36:37], v[48:49], 2.0, -v[9:10]
	v_fma_f64 v[38:39], v[50:51], 2.0, -v[30:31]
	v_fma_f64 v[32:33], v[206:207], 2.0, -v[2:3]
	v_fma_f64 v[34:35], v[208:209], 2.0, -v[0:1]
	v_add_f64 v[0:1], v[9:10], v[0:1]
	v_add_f64 v[2:3], v[30:31], -v[2:3]
	v_fma_f64 v[28:29], v[9:10], 2.0, -v[0:1]
	v_fma_f64 v[30:31], v[30:31], 2.0, -v[2:3]
	ds_write_b128 v248, v[0:3] offset:48
	ds_write_b128 v248, v[28:31] offset:16
	v_add_f64 v[0:1], v[36:37], -v[32:33]
	v_add_f64 v[2:3], v[38:39], -v[34:35]
	v_add_f64 v[9:10], v[19:20], -v[24:25]
	v_add_f64 v[24:25], v[21:22], -v[26:27]
	v_fma_f64 v[28:29], v[36:37], 2.0, -v[0:1]
	v_fma_f64 v[30:31], v[38:39], 2.0, -v[2:3]
	ds_write_b128 v248, v[0:3] offset:32
	v_add_f64 v[2:3], v[44:45], -v[210:211]
	v_add_f64 v[0:1], v[46:47], -v[212:213]
	v_fma_f64 v[34:35], v[19:20], 2.0, -v[9:10]
	v_fma_f64 v[36:37], v[21:22], 2.0, -v[24:25]
	v_fma_f64 v[26:27], v[44:45], 2.0, -v[2:3]
	v_fma_f64 v[32:33], v[46:47], 2.0, -v[0:1]
	v_add_f64 v[0:1], v[9:10], v[0:1]
	v_add_f64 v[2:3], v[24:25], -v[2:3]
	v_fma_f64 v[19:20], v[9:10], 2.0, -v[0:1]
	v_fma_f64 v[21:22], v[24:25], 2.0, -v[2:3]
	ds_write_b128 v249, v[0:3] offset:48
	ds_write_b128 v249, v[19:22] offset:16
	v_add_f64 v[0:1], v[34:35], -v[26:27]
	v_add_f64 v[2:3], v[36:37], -v[32:33]
	v_fma_f64 v[19:20], v[34:35], 2.0, -v[0:1]
	v_fma_f64 v[21:22], v[36:37], 2.0, -v[2:3]
	ds_write_b128 v249, v[0:3] offset:32
	ds_write_b128 v249, v[19:22]
	ds_write_b128 v249, v[4:7] offset:8192
	ds_write_b128 v249, v[11:14] offset:16384
	;; [unrolled: 1-line block ×4, first 2 shown]
	s_waitcnt lgkmcnt(0)
	s_barrier
	buffer_gl0_inv
	ds_read_b128 v[0:3], v240 offset:10240
	s_waitcnt lgkmcnt(0)
	v_mul_f64 v[4:5], v[151:152], v[2:3]
	v_fma_f64 v[9:10], v[149:150], v[0:1], v[4:5]
	v_mul_f64 v[0:1], v[151:152], v[0:1]
	v_fma_f64 v[28:29], v[149:150], v[2:3], -v[0:1]
	ds_read_b128 v[0:3], v240 offset:12288
	s_waitcnt lgkmcnt(0)
	v_mul_f64 v[4:5], v[151:152], v[2:3]
	v_fma_f64 v[30:31], v[149:150], v[0:1], v[4:5]
	v_mul_f64 v[0:1], v[151:152], v[0:1]
	v_fma_f64 v[32:33], v[149:150], v[2:3], -v[0:1]
	;; [unrolled: 6-line block ×10, first 2 shown]
	ds_read_b128 v[0:3], v240 offset:30720
	s_waitcnt lgkmcnt(0)
	v_mul_f64 v[11:12], v[187:188], v[2:3]
	v_fma_f64 v[11:12], v[185:186], v[0:1], v[11:12]
	v_mul_f64 v[0:1], v[187:188], v[0:1]
	v_add_f64 v[219:220], v[9:10], -v[11:12]
	v_fma_f64 v[13:14], v[185:186], v[2:3], -v[0:1]
	ds_read_b128 v[0:3], v240 offset:32768
	s_waitcnt lgkmcnt(0)
	v_mul_f64 v[15:16], v[187:188], v[2:3]
	v_add_f64 v[217:218], v[28:29], -v[13:14]
	v_fma_f64 v[191:192], v[185:186], v[0:1], v[15:16]
	v_mul_f64 v[0:1], v[187:188], v[0:1]
	v_fma_f64 v[203:204], v[185:186], v[2:3], -v[0:1]
	ds_read_b128 v[0:3], v240 offset:34816
	s_waitcnt lgkmcnt(0)
	v_mul_f64 v[15:16], v[187:188], v[2:3]
	v_fma_f64 v[205:206], v[185:186], v[0:1], v[15:16]
	v_mul_f64 v[0:1], v[187:188], v[0:1]
	v_fma_f64 v[207:208], v[185:186], v[2:3], -v[0:1]
	ds_read_b128 v[0:3], v240 offset:36864
	s_waitcnt lgkmcnt(0)
	v_mul_f64 v[15:16], v[187:188], v[2:3]
	;; [unrolled: 6-line block ×3, first 2 shown]
	v_fma_f64 v[213:214], v[185:186], v[0:1], v[15:16]
	v_mul_f64 v[0:1], v[187:188], v[0:1]
	v_fma_f64 v[185:186], v[185:186], v[2:3], -v[0:1]
	ds_read_b128 v[0:3], v240
	ds_read_b128 v[11:14], v240 offset:8192
	ds_read_b128 v[15:18], v240 offset:2048
	;; [unrolled: 1-line block ×4, first 2 shown]
	s_waitcnt lgkmcnt(0)
	s_barrier
	buffer_gl0_inv
	v_add_f64 v[4:5], v[0:1], -v[4:5]
	v_add_f64 v[6:7], v[2:3], -v[6:7]
	v_fma_f64 v[187:188], v[0:1], 2.0, -v[4:5]
	v_fma_f64 v[215:216], v[2:3], 2.0, -v[6:7]
	v_add_f64 v[0:1], v[4:5], v[217:218]
	v_add_f64 v[2:3], v[6:7], -v[219:220]
	v_fma_f64 v[4:5], v[4:5], 2.0, -v[0:1]
	v_fma_f64 v[6:7], v[6:7], 2.0, -v[2:3]
	ds_write_b128 v254, v[0:3] offset:192
	ds_write_b128 v254, v[4:7] offset:64
	v_fma_f64 v[0:1], v[9:10], 2.0, -v[219:220]
	v_fma_f64 v[2:3], v[28:29], 2.0, -v[217:218]
	v_add_f64 v[28:29], v[30:31], -v[191:192]
	v_add_f64 v[0:1], v[187:188], -v[0:1]
	;; [unrolled: 1-line block ×3, first 2 shown]
	v_fma_f64 v[4:5], v[187:188], 2.0, -v[0:1]
	v_fma_f64 v[6:7], v[215:216], 2.0, -v[2:3]
	ds_write_b128 v254, v[0:3] offset:128
	ds_write_b128 v254, v[4:7]
	v_add_f64 v[4:5], v[15:16], -v[46:47]
	v_add_f64 v[6:7], v[17:18], -v[48:49]
	v_fma_f64 v[9:10], v[15:16], 2.0, -v[4:5]
	v_fma_f64 v[15:16], v[17:18], 2.0, -v[6:7]
	v_add_f64 v[17:18], v[32:33], -v[203:204]
	v_add_f64 v[2:3], v[6:7], -v[28:29]
	v_add_f64 v[0:1], v[4:5], v[17:18]
	v_fma_f64 v[6:7], v[6:7], 2.0, -v[2:3]
	v_fma_f64 v[4:5], v[4:5], 2.0, -v[0:1]
	ds_write_b128 v54, v[0:3] offset:192
	ds_write_b128 v54, v[4:7] offset:64
	v_fma_f64 v[0:1], v[30:31], 2.0, -v[28:29]
	v_fma_f64 v[2:3], v[32:33], 2.0, -v[17:18]
	v_add_f64 v[17:18], v[36:37], -v[207:208]
	v_add_f64 v[0:1], v[9:10], -v[0:1]
	;; [unrolled: 1-line block ×3, first 2 shown]
	v_fma_f64 v[4:5], v[9:10], 2.0, -v[0:1]
	v_fma_f64 v[6:7], v[15:16], 2.0, -v[2:3]
	ds_write_b128 v54, v[0:3] offset:128
	ds_write_b128 v54, v[4:7]
	v_add_f64 v[4:5], v[19:20], -v[50:51]
	v_add_f64 v[6:7], v[21:22], -v[58:59]
	v_fma_f64 v[9:10], v[19:20], 2.0, -v[4:5]
	v_add_f64 v[19:20], v[34:35], -v[205:206]
	v_add_f64 v[0:1], v[4:5], v[17:18]
	v_fma_f64 v[15:16], v[21:22], 2.0, -v[6:7]
	v_add_f64 v[2:3], v[6:7], -v[19:20]
	v_fma_f64 v[4:5], v[4:5], 2.0, -v[0:1]
	v_fma_f64 v[6:7], v[6:7], 2.0, -v[2:3]
	ds_write_b128 v53, v[0:3] offset:192
	ds_write_b128 v53, v[4:7] offset:64
	v_fma_f64 v[0:1], v[34:35], 2.0, -v[19:20]
	v_fma_f64 v[2:3], v[36:37], 2.0, -v[17:18]
	v_add_f64 v[17:18], v[40:41], -v[211:212]
	v_add_f64 v[19:20], v[38:39], -v[209:210]
	;; [unrolled: 1-line block ×4, first 2 shown]
	v_fma_f64 v[4:5], v[9:10], 2.0, -v[0:1]
	v_fma_f64 v[6:7], v[15:16], 2.0, -v[2:3]
	ds_write_b128 v53, v[0:3] offset:128
	ds_write_b128 v53, v[4:7]
	v_add_f64 v[4:5], v[24:25], -v[149:150]
	v_add_f64 v[6:7], v[26:27], -v[151:152]
	v_add_f64 v[0:1], v[4:5], v[17:18]
	v_add_f64 v[2:3], v[6:7], -v[19:20]
	v_fma_f64 v[9:10], v[24:25], 2.0, -v[4:5]
	v_fma_f64 v[15:16], v[26:27], 2.0, -v[6:7]
	;; [unrolled: 1-line block ×4, first 2 shown]
	ds_write_b128 v57, v[0:3] offset:192
	ds_write_b128 v57, v[4:7] offset:64
	v_fma_f64 v[0:1], v[38:39], 2.0, -v[19:20]
	v_fma_f64 v[2:3], v[40:41], 2.0, -v[17:18]
	v_add_f64 v[0:1], v[9:10], -v[0:1]
	v_add_f64 v[2:3], v[15:16], -v[2:3]
	v_fma_f64 v[4:5], v[9:10], 2.0, -v[0:1]
	v_fma_f64 v[6:7], v[15:16], 2.0, -v[2:3]
	ds_write_b128 v57, v[0:3] offset:128
	ds_write_b128 v57, v[4:7]
	v_add_f64 v[4:5], v[11:12], -v[201:202]
	v_add_f64 v[6:7], v[13:14], -v[189:190]
	;; [unrolled: 1-line block ×3, first 2 shown]
	v_fma_f64 v[9:10], v[11:12], 2.0, -v[4:5]
	v_fma_f64 v[11:12], v[13:14], 2.0, -v[6:7]
	v_add_f64 v[13:14], v[44:45], -v[185:186]
	v_add_f64 v[2:3], v[6:7], -v[15:16]
	v_add_f64 v[0:1], v[4:5], v[13:14]
	v_fma_f64 v[6:7], v[6:7], 2.0, -v[2:3]
	v_fma_f64 v[4:5], v[4:5], 2.0, -v[0:1]
	ds_write_b128 v255, v[0:3] offset:192
	ds_write_b128 v255, v[4:7] offset:64
	v_fma_f64 v[0:1], v[42:43], 2.0, -v[15:16]
	v_fma_f64 v[2:3], v[44:45], 2.0, -v[13:14]
	v_add_f64 v[0:1], v[9:10], -v[0:1]
	v_add_f64 v[2:3], v[11:12], -v[2:3]
	v_fma_f64 v[4:5], v[9:10], 2.0, -v[0:1]
	v_fma_f64 v[6:7], v[11:12], 2.0, -v[2:3]
	ds_write_b128 v255, v[0:3] offset:128
	ds_write_b128 v255, v[4:7]
	s_waitcnt lgkmcnt(0)
	s_barrier
	buffer_gl0_inv
	ds_read_b128 v[0:3], v240 offset:10240
	s_waitcnt lgkmcnt(0)
	v_mul_f64 v[4:5], v[155:156], v[2:3]
	v_fma_f64 v[9:10], v[153:154], v[0:1], v[4:5]
	v_mul_f64 v[0:1], v[155:156], v[0:1]
	v_fma_f64 v[28:29], v[153:154], v[2:3], -v[0:1]
	ds_read_b128 v[0:3], v240 offset:12288
	s_waitcnt lgkmcnt(0)
	v_mul_f64 v[4:5], v[155:156], v[2:3]
	v_fma_f64 v[30:31], v[153:154], v[0:1], v[4:5]
	v_mul_f64 v[0:1], v[155:156], v[0:1]
	v_fma_f64 v[32:33], v[153:154], v[2:3], -v[0:1]
	;; [unrolled: 6-line block ×10, first 2 shown]
	ds_read_b128 v[0:3], v240 offset:30720
	s_waitcnt lgkmcnt(0)
	v_mul_f64 v[11:12], v[195:196], v[2:3]
	v_fma_f64 v[11:12], v[193:194], v[0:1], v[11:12]
	v_mul_f64 v[0:1], v[195:196], v[0:1]
	v_add_f64 v[203:204], v[9:10], -v[11:12]
	v_fma_f64 v[13:14], v[193:194], v[2:3], -v[0:1]
	ds_read_b128 v[0:3], v240 offset:32768
	s_waitcnt lgkmcnt(0)
	v_mul_f64 v[15:16], v[195:196], v[2:3]
	v_add_f64 v[201:202], v[28:29], -v[13:14]
	v_fma_f64 v[153:154], v[193:194], v[0:1], v[15:16]
	v_mul_f64 v[0:1], v[195:196], v[0:1]
	v_fma_f64 v[155:156], v[193:194], v[2:3], -v[0:1]
	ds_read_b128 v[0:3], v240 offset:34816
	s_waitcnt lgkmcnt(0)
	v_mul_f64 v[15:16], v[195:196], v[2:3]
	v_fma_f64 v[185:186], v[193:194], v[0:1], v[15:16]
	v_mul_f64 v[0:1], v[195:196], v[0:1]
	v_fma_f64 v[187:188], v[193:194], v[2:3], -v[0:1]
	ds_read_b128 v[0:3], v240 offset:36864
	s_waitcnt lgkmcnt(0)
	v_mul_f64 v[15:16], v[195:196], v[2:3]
	;; [unrolled: 6-line block ×3, first 2 shown]
	v_fma_f64 v[197:198], v[193:194], v[0:1], v[15:16]
	v_mul_f64 v[0:1], v[195:196], v[0:1]
	v_fma_f64 v[193:194], v[193:194], v[2:3], -v[0:1]
	ds_read_b128 v[0:3], v240
	ds_read_b128 v[11:14], v240 offset:8192
	ds_read_b128 v[15:18], v240 offset:2048
	;; [unrolled: 1-line block ×4, first 2 shown]
	s_waitcnt lgkmcnt(0)
	s_barrier
	buffer_gl0_inv
	v_add_f64 v[4:5], v[0:1], -v[4:5]
	v_add_f64 v[6:7], v[2:3], -v[6:7]
	v_fma_f64 v[195:196], v[0:1], 2.0, -v[4:5]
	v_fma_f64 v[199:200], v[2:3], 2.0, -v[6:7]
	v_add_f64 v[0:1], v[4:5], v[201:202]
	v_add_f64 v[2:3], v[6:7], -v[203:204]
	v_fma_f64 v[4:5], v[4:5], 2.0, -v[0:1]
	v_fma_f64 v[6:7], v[6:7], 2.0, -v[2:3]
	ds_write_b128 v52, v[0:3] offset:768
	ds_write_b128 v52, v[4:7] offset:256
	v_fma_f64 v[0:1], v[9:10], 2.0, -v[203:204]
	v_fma_f64 v[2:3], v[28:29], 2.0, -v[201:202]
	v_add_f64 v[28:29], v[30:31], -v[153:154]
	v_add_f64 v[0:1], v[195:196], -v[0:1]
	;; [unrolled: 1-line block ×3, first 2 shown]
	v_fma_f64 v[4:5], v[195:196], 2.0, -v[0:1]
	v_fma_f64 v[6:7], v[199:200], 2.0, -v[2:3]
	ds_write_b128 v52, v[0:3] offset:512
	ds_write_b128 v52, v[4:7]
	v_add_f64 v[4:5], v[15:16], -v[46:47]
	v_add_f64 v[6:7], v[17:18], -v[48:49]
	v_fma_f64 v[9:10], v[15:16], 2.0, -v[4:5]
	v_fma_f64 v[15:16], v[17:18], 2.0, -v[6:7]
	v_add_f64 v[17:18], v[32:33], -v[155:156]
	v_add_f64 v[2:3], v[6:7], -v[28:29]
	v_add_f64 v[0:1], v[4:5], v[17:18]
	v_fma_f64 v[6:7], v[6:7], 2.0, -v[2:3]
	v_fma_f64 v[4:5], v[4:5], 2.0, -v[0:1]
	ds_write_b128 v23, v[0:3] offset:768
	ds_write_b128 v23, v[4:7] offset:256
	v_fma_f64 v[0:1], v[30:31], 2.0, -v[28:29]
	v_fma_f64 v[2:3], v[32:33], 2.0, -v[17:18]
	v_add_f64 v[17:18], v[36:37], -v[187:188]
	v_add_f64 v[0:1], v[9:10], -v[0:1]
	;; [unrolled: 1-line block ×3, first 2 shown]
	v_fma_f64 v[4:5], v[9:10], 2.0, -v[0:1]
	v_fma_f64 v[6:7], v[15:16], 2.0, -v[2:3]
	ds_write_b128 v23, v[0:3] offset:512
	ds_write_b128 v23, v[4:7]
	v_add_f64 v[4:5], v[19:20], -v[50:51]
	v_add_f64 v[6:7], v[21:22], -v[53:54]
	v_fma_f64 v[9:10], v[19:20], 2.0, -v[4:5]
	v_add_f64 v[19:20], v[34:35], -v[185:186]
	v_add_f64 v[0:1], v[4:5], v[17:18]
	v_fma_f64 v[15:16], v[21:22], 2.0, -v[6:7]
	v_add_f64 v[2:3], v[6:7], -v[19:20]
	v_fma_f64 v[4:5], v[4:5], 2.0, -v[0:1]
	v_fma_f64 v[6:7], v[6:7], 2.0, -v[2:3]
	ds_write_b128 v55, v[0:3] offset:768
	ds_write_b128 v55, v[4:7] offset:256
	v_fma_f64 v[0:1], v[34:35], 2.0, -v[19:20]
	v_fma_f64 v[2:3], v[36:37], 2.0, -v[17:18]
	v_add_f64 v[17:18], v[40:41], -v[191:192]
	v_add_f64 v[19:20], v[38:39], -v[189:190]
	;; [unrolled: 1-line block ×4, first 2 shown]
	v_fma_f64 v[4:5], v[9:10], 2.0, -v[0:1]
	v_fma_f64 v[6:7], v[15:16], 2.0, -v[2:3]
	ds_write_b128 v55, v[0:3] offset:512
	ds_write_b128 v55, v[4:7]
	v_add_f64 v[4:5], v[24:25], -v[57:58]
	v_add_f64 v[6:7], v[26:27], -v[59:60]
	v_add_f64 v[0:1], v[4:5], v[17:18]
	v_add_f64 v[2:3], v[6:7], -v[19:20]
	v_fma_f64 v[9:10], v[24:25], 2.0, -v[4:5]
	v_fma_f64 v[15:16], v[26:27], 2.0, -v[6:7]
	;; [unrolled: 1-line block ×4, first 2 shown]
	ds_write_b128 v8, v[0:3] offset:768
	ds_write_b128 v8, v[4:7] offset:256
	v_fma_f64 v[0:1], v[38:39], 2.0, -v[19:20]
	v_fma_f64 v[2:3], v[40:41], 2.0, -v[17:18]
	v_add_f64 v[0:1], v[9:10], -v[0:1]
	v_add_f64 v[2:3], v[15:16], -v[2:3]
	v_fma_f64 v[4:5], v[9:10], 2.0, -v[0:1]
	v_fma_f64 v[6:7], v[15:16], 2.0, -v[2:3]
	ds_write_b128 v8, v[0:3] offset:512
	ds_write_b128 v8, v[4:7]
	v_add_f64 v[4:5], v[11:12], -v[149:150]
	v_add_f64 v[6:7], v[13:14], -v[151:152]
	v_fma_f64 v[8:9], v[11:12], 2.0, -v[4:5]
	v_fma_f64 v[10:11], v[13:14], 2.0, -v[6:7]
	v_add_f64 v[12:13], v[44:45], -v[193:194]
	v_add_f64 v[14:15], v[42:43], -v[197:198]
	v_add_f64 v[0:1], v[4:5], v[12:13]
	v_add_f64 v[2:3], v[6:7], -v[14:15]
	v_fma_f64 v[4:5], v[4:5], 2.0, -v[0:1]
	v_fma_f64 v[6:7], v[6:7], 2.0, -v[2:3]
	ds_write_b128 v56, v[0:3] offset:768
	ds_write_b128 v56, v[4:7] offset:256
	v_fma_f64 v[0:1], v[42:43], 2.0, -v[14:15]
	v_fma_f64 v[2:3], v[44:45], 2.0, -v[12:13]
	v_add_f64 v[0:1], v[8:9], -v[0:1]
	v_add_f64 v[2:3], v[10:11], -v[2:3]
	v_fma_f64 v[4:5], v[8:9], 2.0, -v[0:1]
	v_fma_f64 v[6:7], v[10:11], 2.0, -v[2:3]
	ds_write_b128 v56, v[0:3] offset:512
	ds_write_b128 v56, v[4:7]
	s_waitcnt lgkmcnt(0)
	s_barrier
	buffer_gl0_inv
	ds_read_b128 v[0:3], v240 offset:4096
	ds_read_b128 v[149:152], v240 offset:34816
	s_waitcnt lgkmcnt(1)
	v_mul_f64 v[4:5], v[163:164], v[2:3]
	v_fma_f64 v[185:186], v[161:162], v[0:1], v[4:5]
	v_mul_f64 v[0:1], v[163:164], v[0:1]
	v_fma_f64 v[187:188], v[161:162], v[2:3], -v[0:1]
	ds_read_b128 v[0:3], v240 offset:6144
	s_waitcnt lgkmcnt(0)
	v_mul_f64 v[4:5], v[163:164], v[2:3]
	v_fma_f64 v[153:154], v[161:162], v[0:1], v[4:5]
	v_mul_f64 v[0:1], v[163:164], v[0:1]
	v_fma_f64 v[155:156], v[161:162], v[2:3], -v[0:1]
	;; [unrolled: 6-line block ×5, first 2 shown]
	ds_read_b128 v[0:3], v240 offset:14336
	s_waitcnt lgkmcnt(0)
	v_mul_f64 v[4:5], v[179:180], v[2:3]
	v_add_f64 v[6:7], v[187:188], v[183:184]
	v_fma_f64 v[181:182], v[177:178], v[0:1], v[4:5]
	v_mul_f64 v[0:1], v[179:180], v[0:1]
	v_fma_f64 v[177:178], v[177:178], v[2:3], -v[0:1]
	ds_read_b128 v[0:3], v240 offset:16384
	s_waitcnt lgkmcnt(0)
	v_mul_f64 v[4:5], v[175:176], v[2:3]
	v_fma_f64 v[195:196], v[173:174], v[0:1], v[4:5]
	v_mul_f64 v[0:1], v[175:176], v[0:1]
	v_fma_f64 v[197:198], v[173:174], v[2:3], -v[0:1]
	ds_read_b128 v[0:3], v240 offset:18432
	s_waitcnt lgkmcnt(0)
	v_mul_f64 v[4:5], v[175:176], v[2:3]
	v_add_f64 v[12:13], v[197:198], -v[191:192]
	v_fma_f64 v[179:180], v[173:174], v[0:1], v[4:5]
	v_mul_f64 v[0:1], v[175:176], v[0:1]
	v_fma_f64 v[173:174], v[173:174], v[2:3], -v[0:1]
	ds_read_b128 v[0:3], v240 offset:20480
	s_waitcnt lgkmcnt(0)
	v_mul_f64 v[4:5], v[171:172], v[2:3]
	v_fma_f64 v[201:202], v[169:170], v[0:1], v[4:5]
	v_mul_f64 v[0:1], v[171:172], v[0:1]
	v_add_f64 v[16:17], v[201:202], -v[193:194]
	v_fma_f64 v[199:200], v[169:170], v[2:3], -v[0:1]
	ds_read_b128 v[0:3], v240 offset:22528
	s_waitcnt lgkmcnt(0)
	v_mul_f64 v[4:5], v[171:172], v[2:3]
	v_add_f64 v[6:7], v[6:7], v[199:200]
	v_add_f64 v[22:23], v[199:200], -v[183:184]
	v_fma_f64 v[175:176], v[169:170], v[0:1], v[4:5]
	v_mul_f64 v[0:1], v[171:172], v[0:1]
	v_fma_f64 v[169:170], v[169:170], v[2:3], -v[0:1]
	ds_read_b128 v[0:3], v240 offset:24576
	s_waitcnt lgkmcnt(0)
	v_mul_f64 v[4:5], v[167:168], v[2:3]
	v_fma_f64 v[203:204], v[165:166], v[0:1], v[4:5]
	v_mul_f64 v[0:1], v[167:168], v[0:1]
	v_add_f64 v[40:41], v[195:196], -v[203:204]
	v_fma_f64 v[206:207], v[165:166], v[2:3], -v[0:1]
	ds_read_b128 v[0:3], v240 offset:26624
	s_waitcnt lgkmcnt(0)
	v_mul_f64 v[4:5], v[167:168], v[2:3]
	v_add_f64 v[36:37], v[197:198], -v[206:207]
	v_fma_f64 v[171:172], v[165:166], v[0:1], v[4:5]
	v_mul_f64 v[0:1], v[167:168], v[0:1]
	v_fma_f64 v[165:166], v[165:166], v[2:3], -v[0:1]
	ds_read_b128 v[0:3], v240 offset:28672
	s_waitcnt lgkmcnt(0)
	v_mul_f64 v[4:5], v[159:160], v[2:3]
	v_add_f64 v[58:59], v[173:174], -v[165:166]
	v_fma_f64 v[210:211], v[157:158], v[0:1], v[4:5]
	v_mul_f64 v[0:1], v[159:160], v[0:1]
	v_add_f64 v[28:29], v[201:202], -v[210:211]
	v_fma_f64 v[208:209], v[157:158], v[2:3], -v[0:1]
	ds_read_b128 v[0:3], v240 offset:30720
	s_waitcnt lgkmcnt(0)
	v_mul_f64 v[4:5], v[159:160], v[2:3]
	v_add_f64 v[6:7], v[6:7], v[208:209]
	v_add_f64 v[32:33], v[199:200], -v[208:209]
	v_fma_f64 v[167:168], v[157:158], v[0:1], v[4:5]
	v_mul_f64 v[0:1], v[159:160], v[0:1]
	v_add_f64 v[50:51], v[175:176], -v[167:168]
	v_fma_f64 v[157:158], v[157:158], v[2:3], -v[0:1]
	ds_read_b128 v[0:3], v240 offset:32768
	s_waitcnt lgkmcnt(0)
	v_mul_f64 v[4:5], v[87:88], v[2:3]
	v_add_f64 v[54:55], v[169:170], -v[157:158]
	v_fma_f64 v[159:160], v[85:86], v[0:1], v[4:5]
	v_mul_f64 v[0:1], v[87:88], v[0:1]
	v_add_f64 v[38:39], v[189:190], -v[159:160]
	v_fma_f64 v[212:213], v[85:86], v[2:3], -v[0:1]
	v_mul_f64 v[0:1], v[87:88], v[151:152]
	v_add_f64 v[34:35], v[191:192], -v[212:213]
	v_fma_f64 v[214:215], v[85:86], v[149:150], v[0:1]
	v_mul_f64 v[0:1], v[87:88], v[149:150]
	v_add_f64 v[14:15], v[206:207], -v[212:213]
	v_fma_f64 v[149:150], v[85:86], v[151:152], -v[0:1]
	ds_read_b128 v[0:3], v240 offset:36864
	v_add_f64 v[48:49], v[12:13], v[14:15]
	s_waitcnt lgkmcnt(0)
	v_mul_f64 v[4:5], v[83:84], v[2:3]
	v_add_f64 v[56:57], v[163:164], -v[149:150]
	v_fma_f64 v[224:225], v[81:82], v[0:1], v[4:5]
	v_mul_f64 v[0:1], v[83:84], v[0:1]
	v_add_f64 v[26:27], v[193:194], -v[224:225]
	v_fma_f64 v[222:223], v[81:82], v[2:3], -v[0:1]
	ds_read_b128 v[0:3], v240 offset:38912
	v_add_f64 v[18:19], v[193:194], v[224:225]
	v_add_f64 v[20:21], v[210:211], -v[224:225]
	s_waitcnt lgkmcnt(0)
	v_mul_f64 v[4:5], v[83:84], v[2:3]
	v_add_f64 v[6:7], v[6:7], v[222:223]
	v_add_f64 v[30:31], v[183:184], -v[222:223]
	v_add_f64 v[42:43], v[183:184], v[222:223]
	v_add_f64 v[44:45], v[208:209], -v[222:223]
	v_fma_f64 v[18:19], v[18:19], -0.5, v[185:186]
	v_add_f64 v[16:17], v[16:17], v[20:21]
	v_fma_f64 v[151:152], v[81:82], v[0:1], v[4:5]
	v_mul_f64 v[0:1], v[83:84], v[0:1]
	v_add_f64 v[4:5], v[195:196], v[203:204]
	v_fma_f64 v[42:43], v[42:43], -0.5, v[187:188]
	v_add_f64 v[20:21], v[22:23], v[44:45]
	v_fma_f64 v[216:217], v[81:82], v[2:3], -v[0:1]
	ds_read_b128 v[0:3], v240
	s_waitcnt lgkmcnt(0)
	v_fma_f64 v[218:219], v[4:5], -0.5, v[0:1]
	v_add_f64 v[4:5], v[189:190], v[159:160]
	v_add_f64 v[52:53], v[177:178], -v[216:217]
	v_fma_f64 v[226:227], v[4:5], -0.5, v[0:1]
	v_add_f64 v[4:5], v[197:198], v[206:207]
	v_add_f64 v[0:1], v[0:1], v[189:190]
	v_fma_f64 v[220:221], v[4:5], -0.5, v[2:3]
	v_add_f64 v[4:5], v[191:192], v[212:213]
	v_add_f64 v[0:1], v[0:1], v[195:196]
	;; [unrolled: 3-line block ×3, first 2 shown]
	v_add_f64 v[0:1], v[0:1], v[203:204]
	v_add_f64 v[2:3], v[2:3], v[197:198]
	;; [unrolled: 1-line block ×10, first 2 shown]
	v_add_f64 v[85:86], v[0:1], -v[4:5]
	v_add_f64 v[87:88], v[2:3], -v[6:7]
	;; [unrolled: 1-line block ×4, first 2 shown]
	v_add_f64 v[230:231], v[0:1], v[2:3]
	v_add_f64 v[0:1], v[191:192], -v[197:198]
	v_add_f64 v[2:3], v[212:213], -v[206:207]
	v_add_f64 v[232:233], v[0:1], v[2:3]
	v_add_f64 v[0:1], v[193:194], -v[201:202]
	v_add_f64 v[2:3], v[224:225], -v[210:211]
	;; [unrolled: 3-line block ×3, first 2 shown]
	v_add_f64 v[236:237], v[0:1], v[2:3]
	v_add_f64 v[0:1], v[201:202], v[210:211]
	v_fma_f64 v[238:239], v[0:1], -0.5, v[185:186]
	v_add_f64 v[0:1], v[199:200], v[208:209]
	v_fma_f64 v[2:3], v[30:31], s[16:17], v[238:239]
	v_fma_f64 v[24:25], v[0:1], -0.5, v[187:188]
	v_fma_f64 v[2:3], v[32:33], s[12:13], v[2:3]
	v_fma_f64 v[0:1], v[26:27], s[14:15], v[24:25]
	;; [unrolled: 1-line block ×8, first 2 shown]
	v_mul_f64 v[4:5], v[0:1], s[12:13]
	v_mul_f64 v[0:1], v[0:1], s[18:19]
	v_fma_f64 v[4:5], v[2:3], s[18:19], v[4:5]
	v_fma_f64 v[6:7], v[2:3], s[6:7], v[0:1]
	;; [unrolled: 1-line block ×8, first 2 shown]
	v_add_f64 v[0:1], v[8:9], v[4:5]
	v_add_f64 v[2:3], v[10:11], v[6:7]
	v_add_f64 v[4:5], v[8:9], -v[4:5]
	v_add_f64 v[6:7], v[10:11], -v[6:7]
	;; [unrolled: 1-line block ×4, first 2 shown]
	v_add_f64 v[46:47], v[8:9], v[10:11]
	v_fma_f64 v[8:9], v[28:29], s[16:17], v[42:43]
	v_fma_f64 v[10:11], v[32:33], s[14:15], v[18:19]
	;; [unrolled: 1-line block ×16, first 2 shown]
	v_mul_f64 v[12:13], v[8:9], s[16:17]
	v_mul_f64 v[8:9], v[8:9], s[8:9]
	;; [unrolled: 1-line block ×4, first 2 shown]
	v_fma_f64 v[32:33], v[230:231], s[8:9], v[26:27]
	v_fma_f64 v[26:27], v[234:235], s[8:9], v[30:31]
	;; [unrolled: 1-line block ×11, first 2 shown]
	v_add_f64 v[8:9], v[22:23], v[12:13]
	v_add_f64 v[12:13], v[22:23], -v[12:13]
	v_fma_f64 v[22:23], v[36:37], s[16:17], v[226:227]
	v_add_f64 v[10:11], v[44:45], v[14:15]
	v_add_f64 v[14:15], v[44:45], -v[14:15]
	v_fma_f64 v[44:45], v[40:41], s[14:15], v[228:229]
	v_fma_f64 v[22:23], v[34:35], s[6:7], v[22:23]
	;; [unrolled: 1-line block ×8, first 2 shown]
	v_add_f64 v[48:49], v[181:182], -v[151:152]
	v_add_f64 v[16:17], v[22:23], v[42:43]
	v_fma_f64 v[34:35], v[232:233], s[8:9], v[28:29]
	v_mul_f64 v[28:29], v[24:25], s[12:13]
	v_mul_f64 v[24:25], v[24:25], s[22:23]
	v_add_f64 v[18:19], v[44:45], v[46:47]
	v_add_f64 v[20:21], v[22:23], -v[42:43]
	v_add_f64 v[22:23], v[44:45], -v[46:47]
	v_fma_f64 v[28:29], v[26:27], s[22:23], v[28:29]
	v_fma_f64 v[30:31], v[26:27], s[6:7], v[24:25]
	v_add_f64 v[24:25], v[32:33], v[28:29]
	v_add_f64 v[26:27], v[34:35], v[30:31]
	v_add_f64 v[28:29], v[32:33], -v[28:29]
	v_add_f64 v[30:31], v[34:35], -v[30:31]
	ds_read_b128 v[32:35], v240 offset:2048
	s_waitcnt lgkmcnt(0)
	s_barrier
	buffer_gl0_inv
	ds_write_b128 v241, v[81:84]
	ds_write_b128 v241, v[85:88] offset:5120
	ds_write_b128 v241, v[0:3] offset:1024
	;; [unrolled: 1-line block ×9, first 2 shown]
	v_add_f64 v[0:1], v[179:180], v[171:172]
	v_add_f64 v[4:5], v[153:154], v[181:182]
	v_add_f64 v[6:7], v[155:156], v[177:178]
	v_add_f64 v[81:82], v[161:162], -v[214:215]
	v_add_f64 v[83:84], v[179:180], -v[171:172]
	v_add_f64 v[2:3], v[34:35], v[163:164]
	v_add_f64 v[30:31], v[177:178], v[216:217]
	v_add_f64 v[22:23], v[165:166], -v[149:150]
	v_add_f64 v[28:29], v[169:170], -v[177:178]
	;; [unrolled: 1-line block ×5, first 2 shown]
	v_fma_f64 v[36:37], v[0:1], -0.5, v[32:33]
	v_add_f64 v[0:1], v[161:162], v[214:215]
	v_add_f64 v[4:5], v[4:5], v[175:176]
	;; [unrolled: 1-line block ×4, first 2 shown]
	v_fma_f64 v[30:31], v[30:31], -0.5, v[155:156]
	v_add_f64 v[28:29], v[28:29], v[85:86]
	v_fma_f64 v[24:25], v[0:1], -0.5, v[32:33]
	v_add_f64 v[0:1], v[173:174], v[165:166]
	v_add_f64 v[4:5], v[4:5], v[167:168]
	;; [unrolled: 1-line block ×4, first 2 shown]
	v_fma_f64 v[38:39], v[0:1], -0.5, v[34:35]
	v_add_f64 v[0:1], v[163:164], v[149:150]
	v_add_f64 v[4:5], v[4:5], v[151:152]
	;; [unrolled: 1-line block ×4, first 2 shown]
	v_fma_f64 v[26:27], v[0:1], -0.5, v[34:35]
	v_add_f64 v[0:1], v[32:33], v[161:162]
	v_add_f64 v[2:3], v[10:11], v[6:7]
	v_add_f64 v[6:7], v[10:11], -v[6:7]
	v_add_f64 v[10:11], v[214:215], -v[171:172]
	v_add_f64 v[0:1], v[0:1], v[179:180]
	v_add_f64 v[0:1], v[0:1], v[171:172]
	;; [unrolled: 1-line block ×4, first 2 shown]
	v_add_f64 v[4:5], v[8:9], -v[4:5]
	v_add_f64 v[8:9], v[161:162], -v[179:180]
	v_add_f64 v[32:33], v[8:9], v[10:11]
	v_add_f64 v[8:9], v[163:164], -v[173:174]
	v_add_f64 v[10:11], v[149:150], -v[165:166]
	;; [unrolled: 1-line block ×3, first 2 shown]
	v_add_f64 v[34:35], v[8:9], v[10:11]
	v_add_f64 v[8:9], v[181:182], -v[175:176]
	v_add_f64 v[10:11], v[151:152], -v[167:168]
	v_add_f64 v[151:152], v[181:182], v[151:152]
	v_add_f64 v[87:88], v[87:88], v[149:150]
	;; [unrolled: 1-line block ×3, first 2 shown]
	v_add_f64 v[8:9], v[177:178], -v[169:170]
	v_add_f64 v[10:11], v[216:217], -v[157:158]
	v_fma_f64 v[85:86], v[151:152], -0.5, v[153:154]
	v_add_f64 v[42:43], v[8:9], v[10:11]
	v_add_f64 v[8:9], v[175:176], v[167:168]
	v_fma_f64 v[44:45], v[8:9], -0.5, v[153:154]
	v_add_f64 v[8:9], v[169:170], v[157:158]
	v_add_f64 v[157:158], v[20:21], v[22:23]
	v_fma_f64 v[10:11], v[52:53], s[16:17], v[44:45]
	v_fma_f64 v[46:47], v[8:9], -0.5, v[155:156]
	v_fma_f64 v[44:45], v[52:53], s[14:15], v[44:45]
	v_fma_f64 v[10:11], v[54:55], s[12:13], v[10:11]
	;; [unrolled: 1-line block ×10, first 2 shown]
	v_mul_f64 v[12:13], v[8:9], s[12:13]
	v_mul_f64 v[8:9], v[8:9], s[18:19]
	v_fma_f64 v[12:13], v[10:11], s[18:19], v[12:13]
	v_fma_f64 v[14:15], v[10:11], s[6:7], v[8:9]
	;; [unrolled: 1-line block ×15, first 2 shown]
	v_mul_f64 v[34:35], v[42:43], s[12:13]
	v_mul_f64 v[40:41], v[42:43], s[22:23]
	v_add_f64 v[8:9], v[16:17], v[12:13]
	v_add_f64 v[10:11], v[18:19], v[14:15]
	v_add_f64 v[12:13], v[16:17], -v[12:13]
	v_add_f64 v[14:15], v[18:19], -v[14:15]
	;; [unrolled: 1-line block ×4, first 2 shown]
	v_fma_f64 v[42:43], v[32:33], s[22:23], v[34:35]
	v_fma_f64 v[40:41], v[32:33], s[6:7], v[40:41]
	v_add_f64 v[155:156], v[16:17], v[18:19]
	v_fma_f64 v[16:17], v[50:51], s[16:17], v[30:31]
	v_fma_f64 v[18:19], v[54:55], s[14:15], v[85:86]
	v_add_f64 v[32:33], v[36:37], v[42:43]
	v_add_f64 v[34:35], v[38:39], v[40:41]
	v_add_f64 v[36:37], v[36:37], -v[42:43]
	v_add_f64 v[38:39], v[38:39], -v[40:41]
	v_fma_f64 v[16:17], v[48:49], s[6:7], v[16:17]
	v_fma_f64 v[18:19], v[52:53], s[12:13], v[18:19]
	;; [unrolled: 1-line block ×4, first 2 shown]
	v_mul_f64 v[20:21], v[16:17], s[16:17]
	v_mul_f64 v[16:17], v[16:17], s[8:9]
	v_fma_f64 v[20:21], v[18:19], s[8:9], v[20:21]
	v_fma_f64 v[22:23], v[18:19], s[14:15], v[16:17]
	;; [unrolled: 1-line block ×12, first 2 shown]
	v_add_f64 v[16:17], v[149:150], v[20:21]
	v_add_f64 v[20:21], v[149:150], -v[20:21]
	v_fma_f64 v[149:150], v[155:156], s[8:9], v[24:25]
	v_fma_f64 v[24:25], v[50:51], s[14:15], v[30:31]
	;; [unrolled: 1-line block ×4, first 2 shown]
	v_add_f64 v[18:19], v[151:152], v[22:23]
	v_add_f64 v[22:23], v[151:152], -v[22:23]
	v_fma_f64 v[24:25], v[48:49], s[12:13], v[24:25]
	v_fma_f64 v[26:27], v[52:53], s[6:7], v[26:27]
	s_mul_i32 s6, s0, 0x2800
	v_fma_f64 v[24:25], v[28:29], s[8:9], v[24:25]
	v_fma_f64 v[26:27], v[87:88], s[8:9], v[26:27]
	v_mul_f64 v[28:29], v[24:25], s[16:17]
	v_mul_f64 v[24:25], v[24:25], s[20:21]
	v_fma_f64 v[28:29], v[26:27], s[20:21], v[28:29]
	v_fma_f64 v[85:86], v[26:27], s[14:15], v[24:25]
	v_add_f64 v[24:25], v[149:150], v[28:29]
	v_add_f64 v[26:27], v[30:31], v[85:86]
	v_add_f64 v[28:29], v[149:150], -v[28:29]
	v_add_f64 v[30:31], v[30:31], -v[85:86]
	ds_write_b128 v242, v[0:3]
	ds_write_b128 v242, v[8:11] offset:1024
	ds_write_b128 v242, v[16:19] offset:2048
	;; [unrolled: 1-line block ×9, first 2 shown]
	s_waitcnt lgkmcnt(0)
	s_barrier
	buffer_gl0_inv
	ds_read_b128 v[0:3], v240 offset:10240
	s_waitcnt lgkmcnt(0)
	v_mul_f64 v[4:5], v[91:92], v[2:3]
	v_fma_f64 v[24:25], v[89:90], v[0:1], v[4:5]
	v_mul_f64 v[0:1], v[91:92], v[0:1]
	v_fma_f64 v[26:27], v[89:90], v[2:3], -v[0:1]
	ds_read_b128 v[0:3], v240 offset:20480
	s_waitcnt lgkmcnt(0)
	v_mul_f64 v[4:5], v[95:96], v[2:3]
	v_fma_f64 v[4:5], v[93:94], v[0:1], v[4:5]
	v_mul_f64 v[0:1], v[95:96], v[0:1]
	v_fma_f64 v[6:7], v[93:94], v[2:3], -v[0:1]
	ds_read_b128 v[0:3], v240 offset:30720
	s_waitcnt lgkmcnt(0)
	v_mul_f64 v[8:9], v[99:100], v[2:3]
	v_fma_f64 v[8:9], v[97:98], v[0:1], v[8:9]
	v_mul_f64 v[0:1], v[99:100], v[0:1]
	v_add_f64 v[91:92], v[24:25], -v[8:9]
	v_fma_f64 v[10:11], v[97:98], v[2:3], -v[0:1]
	ds_read_b128 v[0:3], v240 offset:12288
	s_waitcnt lgkmcnt(0)
	v_mul_f64 v[12:13], v[103:104], v[2:3]
	v_add_f64 v[89:90], v[26:27], -v[10:11]
	v_fma_f64 v[28:29], v[101:102], v[0:1], v[12:13]
	v_mul_f64 v[0:1], v[103:104], v[0:1]
	v_fma_f64 v[30:31], v[101:102], v[2:3], -v[0:1]
	ds_read_b128 v[0:3], v240 offset:22528
	s_waitcnt lgkmcnt(0)
	v_mul_f64 v[12:13], v[111:112], v[2:3]
	v_fma_f64 v[12:13], v[109:110], v[0:1], v[12:13]
	v_mul_f64 v[0:1], v[111:112], v[0:1]
	v_fma_f64 v[14:15], v[109:110], v[2:3], -v[0:1]
	ds_read_b128 v[0:3], v240 offset:32768
	s_waitcnt lgkmcnt(0)
	v_mul_f64 v[16:17], v[107:108], v[2:3]
	v_fma_f64 v[16:17], v[105:106], v[0:1], v[16:17]
	v_mul_f64 v[0:1], v[107:108], v[0:1]
	v_add_f64 v[99:100], v[28:29], -v[16:17]
	v_fma_f64 v[18:19], v[105:106], v[2:3], -v[0:1]
	ds_read_b128 v[0:3], v240 offset:14336
	s_waitcnt lgkmcnt(0)
	v_mul_f64 v[20:21], v[115:116], v[2:3]
	v_add_f64 v[97:98], v[30:31], -v[18:19]
	;; [unrolled: 20-line block ×4, first 2 shown]
	v_fma_f64 v[52:53], v[137:138], v[0:1], v[52:53]
	v_mul_f64 v[0:1], v[139:140], v[0:1]
	v_fma_f64 v[54:55], v[137:138], v[2:3], -v[0:1]
	ds_read_b128 v[0:3], v240 offset:28672
	s_waitcnt lgkmcnt(0)
	v_mul_f64 v[56:57], v[143:144], v[2:3]
	v_fma_f64 v[56:57], v[141:142], v[0:1], v[56:57]
	v_mul_f64 v[0:1], v[143:144], v[0:1]
	v_fma_f64 v[58:59], v[141:142], v[2:3], -v[0:1]
	ds_read_b128 v[0:3], v240 offset:38912
	s_waitcnt lgkmcnt(0)
	v_mul_f64 v[81:82], v[147:148], v[2:3]
	v_fma_f64 v[81:82], v[145:146], v[0:1], v[81:82]
	v_mul_f64 v[0:1], v[147:148], v[0:1]
	v_add_f64 v[81:82], v[52:53], -v[81:82]
	v_fma_f64 v[83:84], v[145:146], v[2:3], -v[0:1]
	ds_read_b128 v[0:3], v240
	s_waitcnt lgkmcnt(0)
	v_add_f64 v[4:5], v[0:1], -v[4:5]
	v_add_f64 v[6:7], v[2:3], -v[6:7]
	;; [unrolled: 1-line block ×3, first 2 shown]
	v_fma_f64 v[85:86], v[0:1], 2.0, -v[4:5]
	v_fma_f64 v[87:88], v[2:3], 2.0, -v[6:7]
	v_add_f64 v[0:1], v[4:5], v[89:90]
	v_add_f64 v[2:3], v[6:7], -v[91:92]
	v_fma_f64 v[4:5], v[4:5], 2.0, -v[0:1]
	v_fma_f64 v[6:7], v[6:7], 2.0, -v[2:3]
	ds_write_b128 v240, v[0:3] offset:30720
	ds_read_b128 v[0:3], v240 offset:2048
	s_waitcnt lgkmcnt(0)
	v_add_f64 v[8:9], v[0:1], -v[12:13]
	v_add_f64 v[10:11], v[2:3], -v[14:15]
	v_fma_f64 v[93:94], v[0:1], 2.0, -v[8:9]
	v_fma_f64 v[95:96], v[2:3], 2.0, -v[10:11]
	v_add_f64 v[0:1], v[8:9], v[97:98]
	v_add_f64 v[2:3], v[10:11], -v[99:100]
	v_fma_f64 v[8:9], v[8:9], 2.0, -v[0:1]
	v_fma_f64 v[10:11], v[10:11], 2.0, -v[2:3]
	ds_write_b128 v240, v[0:3] offset:32768
	ds_read_b128 v[0:3], v240 offset:4096
	s_waitcnt lgkmcnt(0)
	v_add_f64 v[12:13], v[0:1], -v[20:21]
	v_add_f64 v[14:15], v[2:3], -v[22:23]
	;; [unrolled: 11-line block ×4, first 2 shown]
	v_fma_f64 v[56:57], v[0:1], 2.0, -v[20:21]
	v_fma_f64 v[58:59], v[2:3], 2.0, -v[22:23]
	v_add_f64 v[0:1], v[20:21], v[83:84]
	v_add_f64 v[2:3], v[22:23], -v[81:82]
	ds_write_b128 v240, v[0:3] offset:38912
	ds_write_b128 v240, v[4:7] offset:10240
	v_fma_f64 v[20:21], v[20:21], 2.0, -v[0:1]
	v_fma_f64 v[22:23], v[22:23], 2.0, -v[2:3]
	v_fma_f64 v[0:1], v[24:25], 2.0, -v[91:92]
	v_fma_f64 v[2:3], v[26:27], 2.0, -v[89:90]
	v_add_f64 v[0:1], v[85:86], -v[0:1]
	v_add_f64 v[2:3], v[87:88], -v[2:3]
	ds_write_b128 v240, v[0:3] offset:20480
	ds_write_b128 v240, v[8:11] offset:12288
	v_fma_f64 v[4:5], v[85:86], 2.0, -v[0:1]
	v_fma_f64 v[6:7], v[87:88], 2.0, -v[2:3]
	v_fma_f64 v[0:1], v[28:29], 2.0, -v[99:100]
	v_fma_f64 v[2:3], v[30:31], 2.0, -v[97:98]
	v_add_f64 v[0:1], v[93:94], -v[0:1]
	;; [unrolled: 8-line block ×5, first 2 shown]
	v_add_f64 v[2:3], v[58:59], -v[2:3]
	v_fma_f64 v[20:21], v[56:57], 2.0, -v[0:1]
	v_fma_f64 v[22:23], v[58:59], 2.0, -v[2:3]
	ds_write_b128 v240, v[0:3] offset:28672
	ds_write_b128 v240, v[4:7]
	ds_write_b128 v240, v[8:11] offset:2048
	ds_write_b128 v240, v[12:15] offset:4096
	;; [unrolled: 1-line block ×4, first 2 shown]
	s_waitcnt lgkmcnt(0)
	s_barrier
	buffer_gl0_inv
	ds_read_b128 v[0:3], v240
	s_clause 0x3
	buffer_load_dword v6, off, s[28:31], 0 offset:152
	buffer_load_dword v7, off, s[28:31], 0 offset:156
	buffer_load_dword v8, off, s[28:31], 0 offset:160
	buffer_load_dword v9, off, s[28:31], 0 offset:164
	s_waitcnt vmcnt(0) lgkmcnt(0)
	v_mul_f64 v[4:5], v[8:9], v[2:3]
	v_fma_f64 v[4:5], v[6:7], v[0:1], v[4:5]
	v_mul_f64 v[0:1], v[8:9], v[0:1]
	v_fma_f64 v[6:7], v[6:7], v[2:3], -v[0:1]
	ds_read_b128 v[0:3], v240 offset:10240
	s_clause 0x3
	buffer_load_dword v10, off, s[28:31], 0 offset:120
	buffer_load_dword v11, off, s[28:31], 0 offset:124
	buffer_load_dword v12, off, s[28:31], 0 offset:128
	buffer_load_dword v13, off, s[28:31], 0 offset:132
	s_waitcnt vmcnt(0) lgkmcnt(0)
	v_mul_f64 v[8:9], v[12:13], v[2:3]
	v_fma_f64 v[8:9], v[10:11], v[0:1], v[8:9]
	v_mul_f64 v[0:1], v[12:13], v[0:1]
	v_fma_f64 v[10:11], v[10:11], v[2:3], -v[0:1]
	ds_read_b128 v[0:3], v240 offset:20480
	;; [unrolled: 11-line block ×13, first 2 shown]
	s_waitcnt lgkmcnt(0)
	v_mul_f64 v[56:57], v[252:253], v[2:3]
	v_fma_f64 v[56:57], v[250:251], v[0:1], v[56:57]
	v_mul_f64 v[0:1], v[252:253], v[0:1]
	v_fma_f64 v[58:59], v[250:251], v[2:3], -v[0:1]
	ds_read_b128 v[0:3], v240 offset:26624
	s_waitcnt lgkmcnt(0)
	v_mul_f64 v[81:82], v[245:246], v[2:3]
	v_fma_f64 v[81:82], v[243:244], v[0:1], v[81:82]
	v_mul_f64 v[0:1], v[245:246], v[0:1]
	v_fma_f64 v[83:84], v[243:244], v[2:3], -v[0:1]
	ds_read_b128 v[0:3], v240 offset:36864
	;; [unrolled: 6-line block ×6, first 2 shown]
	s_waitcnt lgkmcnt(0)
	v_mul_f64 v[74:75], v[79:80], v[2:3]
	v_fma_f64 v[74:75], v[77:78], v[0:1], v[74:75]
	v_mul_f64 v[0:1], v[79:80], v[0:1]
	v_fma_f64 v[76:77], v[77:78], v[2:3], -v[0:1]
	s_clause 0x1
	buffer_load_dword v2, off, s[28:31], 0
	buffer_load_dword v3, off, s[28:31], 0 offset:4
	s_waitcnt vmcnt(1)
	v_mad_u64_u32 v[0:1], null, s2, v2, 0
	v_mad_u64_u32 v[1:2], null, s3, v2, v[1:2]
	s_load_dwordx2 s[2:3], s[4:5], 0x38
	s_waitcnt vmcnt(0)
	v_mad_u64_u32 v[2:3], null, s0, v247, 0
	s_mul_i32 s4, s1, 0x2800
	s_mul_hi_u32 s5, s0, 0x2800
	v_lshlrev_b64 v[0:1], 4, v[0:1]
	s_add_i32 s5, s5, s4
	s_mul_hi_u32 s4, s0, 0xffff9000
	v_mad_u64_u32 v[78:79], null, s1, v247, v[3:4]
	s_mulk_i32 s1, 0x9000
	s_sub_i32 s4, s4, s0
	s_mulk_i32 s0, 0x9000
	s_add_i32 s4, s4, s1
	v_mov_b32_e32 v3, v78
	s_waitcnt lgkmcnt(0)
	v_add_co_u32 v78, vcc_lo, s2, v0
	v_add_co_ci_u32_e32 v79, vcc_lo, s3, v1, vcc_lo
	v_lshlrev_b64 v[0:1], 4, v[2:3]
	s_mov_b32 s2, 0x9999999a
	s_mov_b32 s3, 0x3f399999
	v_mul_f64 v[2:3], v[6:7], s[2:3]
	v_mul_f64 v[6:7], v[26:27], s[2:3]
	v_add_co_u32 v78, vcc_lo, v78, v0
	v_add_co_ci_u32_e32 v79, vcc_lo, v79, v1, vcc_lo
	v_mul_f64 v[0:1], v[4:5], s[2:3]
	v_add_co_u32 v4, vcc_lo, v78, s6
	v_add_co_ci_u32_e32 v5, vcc_lo, s5, v79, vcc_lo
	v_mul_f64 v[26:27], v[83:84], s[2:3]
	global_store_dwordx4 v[78:79], v[0:3], off
	v_mul_f64 v[0:1], v[8:9], s[2:3]
	v_mul_f64 v[2:3], v[10:11], s[2:3]
	global_store_dwordx4 v[4:5], v[0:3], off
	v_mul_f64 v[0:1], v[12:13], s[2:3]
	v_mul_f64 v[2:3], v[14:15], s[2:3]
	v_add_co_u32 v4, vcc_lo, v4, s6
	v_add_co_ci_u32_e32 v5, vcc_lo, s5, v5, vcc_lo
	v_mul_f64 v[14:15], v[50:51], s[2:3]
	global_store_dwordx4 v[4:5], v[0:3], off
	v_mul_f64 v[0:1], v[16:17], s[2:3]
	v_mul_f64 v[2:3], v[18:19], s[2:3]
	v_add_co_u32 v4, vcc_lo, v4, s6
	v_add_co_ci_u32_e32 v5, vcc_lo, s5, v5, vcc_lo
	v_mul_f64 v[16:17], v[52:53], s[2:3]
	v_add_co_u32 v8, vcc_lo, v4, s0
	v_add_co_ci_u32_e32 v9, vcc_lo, s4, v5, vcc_lo
	;; [unrolled: 3-line block ×3, first 2 shown]
	global_store_dwordx4 v[4:5], v[0:3], off
	v_mul_f64 v[0:1], v[20:21], s[2:3]
	v_mul_f64 v[2:3], v[22:23], s[2:3]
	;; [unrolled: 1-line block ×6, first 2 shown]
	global_store_dwordx4 v[8:9], v[0:3], off
	v_add_co_u32 v8, vcc_lo, v10, s6
	v_add_co_ci_u32_e32 v9, vcc_lo, s5, v11, vcc_lo
	v_mul_f64 v[0:1], v[28:29], s[2:3]
	v_add_co_u32 v12, vcc_lo, v8, s6
	v_add_co_ci_u32_e32 v13, vcc_lo, s5, v9, vcc_lo
	v_mul_f64 v[2:3], v[30:31], s[2:3]
	v_add_co_u32 v78, vcc_lo, v12, s0
	v_add_co_ci_u32_e32 v79, vcc_lo, s4, v13, vcc_lo
	global_store_dwordx4 v[10:11], v[4:7], off
	v_add_co_u32 v87, vcc_lo, v78, s6
	v_add_co_ci_u32_e32 v88, vcc_lo, s5, v79, vcc_lo
	v_mul_f64 v[4:5], v[32:33], s[2:3]
	v_add_co_u32 v89, vcc_lo, v87, s6
	v_add_co_ci_u32_e32 v90, vcc_lo, s5, v88, vcc_lo
	v_mul_f64 v[6:7], v[34:35], s[2:3]
	;; [unrolled: 3-line block ×3, first 2 shown]
	v_add_co_u32 v93, vcc_lo, v91, s0
	v_add_co_ci_u32_e32 v94, vcc_lo, s4, v92, vcc_lo
	global_store_dwordx4 v[8:9], v[0:3], off
	v_add_co_u32 v95, vcc_lo, v93, s6
	v_add_co_ci_u32_e32 v96, vcc_lo, s5, v94, vcc_lo
	v_mul_f64 v[0:1], v[36:37], s[2:3]
	v_mul_f64 v[2:3], v[38:39], s[2:3]
	v_add_co_u32 v97, vcc_lo, v95, s6
	v_add_co_ci_u32_e32 v98, vcc_lo, s5, v96, vcc_lo
	v_mul_f64 v[8:9], v[44:45], s[2:3]
	global_store_dwordx4 v[12:13], v[4:7], off
	v_add_co_u32 v99, vcc_lo, v97, s6
	v_mul_f64 v[4:5], v[40:41], s[2:3]
	v_mul_f64 v[6:7], v[42:43], s[2:3]
	v_add_co_ci_u32_e32 v100, vcc_lo, s5, v98, vcc_lo
	v_mul_f64 v[12:13], v[48:49], s[2:3]
	v_add_co_u32 v101, vcc_lo, v99, s0
	v_mul_f64 v[28:29], v[85:86], s[2:3]
	v_mul_f64 v[30:31], v[60:61], s[2:3]
	v_add_co_ci_u32_e32 v102, vcc_lo, s4, v100, vcc_lo
	v_mul_f64 v[32:33], v[62:63], s[2:3]
	v_mul_f64 v[34:35], v[64:65], s[2:3]
	;; [unrolled: 1-line block ×8, first 2 shown]
	v_add_co_u32 v48, vcc_lo, v101, s6
	v_add_co_ci_u32_e32 v49, vcc_lo, s5, v102, vcc_lo
	global_store_dwordx4 v[78:79], v[0:3], off
	v_add_co_u32 v0, vcc_lo, v48, s6
	v_add_co_ci_u32_e32 v1, vcc_lo, s5, v49, vcc_lo
	v_add_co_u32 v2, vcc_lo, v0, s6
	v_add_co_ci_u32_e32 v3, vcc_lo, s5, v1, vcc_lo
	global_store_dwordx4 v[87:88], v[4:7], off
	global_store_dwordx4 v[89:90], v[8:11], off
	global_store_dwordx4 v[91:92], v[12:15], off
	global_store_dwordx4 v[93:94], v[16:19], off
	global_store_dwordx4 v[95:96], v[20:23], off
	global_store_dwordx4 v[97:98], v[24:27], off
	global_store_dwordx4 v[99:100], v[28:31], off
	global_store_dwordx4 v[101:102], v[32:35], off
	global_store_dwordx4 v[48:49], v[36:39], off
	global_store_dwordx4 v[0:1], v[40:43], off
	global_store_dwordx4 v[2:3], v[44:47], off
.LBB0_2:
	s_endpgm
	.section	.rodata,"a",@progbits
	.p2align	6, 0x0
	.amdhsa_kernel bluestein_single_fwd_len2560_dim1_dp_op_CI_CI
		.amdhsa_group_segment_fixed_size 40960
		.amdhsa_private_segment_fixed_size 232
		.amdhsa_kernarg_size 104
		.amdhsa_user_sgpr_count 6
		.amdhsa_user_sgpr_private_segment_buffer 1
		.amdhsa_user_sgpr_dispatch_ptr 0
		.amdhsa_user_sgpr_queue_ptr 0
		.amdhsa_user_sgpr_kernarg_segment_ptr 1
		.amdhsa_user_sgpr_dispatch_id 0
		.amdhsa_user_sgpr_flat_scratch_init 0
		.amdhsa_user_sgpr_private_segment_size 0
		.amdhsa_wavefront_size32 1
		.amdhsa_uses_dynamic_stack 0
		.amdhsa_system_sgpr_private_segment_wavefront_offset 1
		.amdhsa_system_sgpr_workgroup_id_x 1
		.amdhsa_system_sgpr_workgroup_id_y 0
		.amdhsa_system_sgpr_workgroup_id_z 0
		.amdhsa_system_sgpr_workgroup_info 0
		.amdhsa_system_vgpr_workitem_id 0
		.amdhsa_next_free_vgpr 256
		.amdhsa_next_free_sgpr 32
		.amdhsa_reserve_vcc 1
		.amdhsa_reserve_flat_scratch 0
		.amdhsa_float_round_mode_32 0
		.amdhsa_float_round_mode_16_64 0
		.amdhsa_float_denorm_mode_32 3
		.amdhsa_float_denorm_mode_16_64 3
		.amdhsa_dx10_clamp 1
		.amdhsa_ieee_mode 1
		.amdhsa_fp16_overflow 0
		.amdhsa_workgroup_processor_mode 1
		.amdhsa_memory_ordered 1
		.amdhsa_forward_progress 0
		.amdhsa_shared_vgpr_count 0
		.amdhsa_exception_fp_ieee_invalid_op 0
		.amdhsa_exception_fp_denorm_src 0
		.amdhsa_exception_fp_ieee_div_zero 0
		.amdhsa_exception_fp_ieee_overflow 0
		.amdhsa_exception_fp_ieee_underflow 0
		.amdhsa_exception_fp_ieee_inexact 0
		.amdhsa_exception_int_div_zero 0
	.end_amdhsa_kernel
	.text
.Lfunc_end0:
	.size	bluestein_single_fwd_len2560_dim1_dp_op_CI_CI, .Lfunc_end0-bluestein_single_fwd_len2560_dim1_dp_op_CI_CI
                                        ; -- End function
	.section	.AMDGPU.csdata,"",@progbits
; Kernel info:
; codeLenInByte = 24716
; NumSgprs: 34
; NumVgprs: 256
; ScratchSize: 232
; MemoryBound: 0
; FloatMode: 240
; IeeeMode: 1
; LDSByteSize: 40960 bytes/workgroup (compile time only)
; SGPRBlocks: 4
; VGPRBlocks: 31
; NumSGPRsForWavesPerEU: 34
; NumVGPRsForWavesPerEU: 256
; Occupancy: 3
; WaveLimiterHint : 1
; COMPUTE_PGM_RSRC2:SCRATCH_EN: 1
; COMPUTE_PGM_RSRC2:USER_SGPR: 6
; COMPUTE_PGM_RSRC2:TRAP_HANDLER: 0
; COMPUTE_PGM_RSRC2:TGID_X_EN: 1
; COMPUTE_PGM_RSRC2:TGID_Y_EN: 0
; COMPUTE_PGM_RSRC2:TGID_Z_EN: 0
; COMPUTE_PGM_RSRC2:TIDIG_COMP_CNT: 0
	.text
	.p2alignl 6, 3214868480
	.fill 48, 4, 3214868480
	.type	__hip_cuid_dceb132a3c5f135b,@object ; @__hip_cuid_dceb132a3c5f135b
	.section	.bss,"aw",@nobits
	.globl	__hip_cuid_dceb132a3c5f135b
__hip_cuid_dceb132a3c5f135b:
	.byte	0                               ; 0x0
	.size	__hip_cuid_dceb132a3c5f135b, 1

	.ident	"AMD clang version 19.0.0git (https://github.com/RadeonOpenCompute/llvm-project roc-6.4.0 25133 c7fe45cf4b819c5991fe208aaa96edf142730f1d)"
	.section	".note.GNU-stack","",@progbits
	.addrsig
	.addrsig_sym __hip_cuid_dceb132a3c5f135b
	.amdgpu_metadata
---
amdhsa.kernels:
  - .args:
      - .actual_access:  read_only
        .address_space:  global
        .offset:         0
        .size:           8
        .value_kind:     global_buffer
      - .actual_access:  read_only
        .address_space:  global
        .offset:         8
        .size:           8
        .value_kind:     global_buffer
      - .actual_access:  read_only
        .address_space:  global
        .offset:         16
        .size:           8
        .value_kind:     global_buffer
      - .actual_access:  read_only
        .address_space:  global
        .offset:         24
        .size:           8
        .value_kind:     global_buffer
      - .actual_access:  read_only
        .address_space:  global
        .offset:         32
        .size:           8
        .value_kind:     global_buffer
      - .offset:         40
        .size:           8
        .value_kind:     by_value
      - .address_space:  global
        .offset:         48
        .size:           8
        .value_kind:     global_buffer
      - .address_space:  global
        .offset:         56
        .size:           8
        .value_kind:     global_buffer
      - .address_space:  global
        .offset:         64
        .size:           8
        .value_kind:     global_buffer
      - .address_space:  global
        .offset:         72
        .size:           8
        .value_kind:     global_buffer
      - .offset:         80
        .size:           4
        .value_kind:     by_value
      - .address_space:  global
        .offset:         88
        .size:           8
        .value_kind:     global_buffer
      - .address_space:  global
        .offset:         96
        .size:           8
        .value_kind:     global_buffer
    .group_segment_fixed_size: 40960
    .kernarg_segment_align: 8
    .kernarg_segment_size: 104
    .language:       OpenCL C
    .language_version:
      - 2
      - 0
    .max_flat_workgroup_size: 128
    .name:           bluestein_single_fwd_len2560_dim1_dp_op_CI_CI
    .private_segment_fixed_size: 232
    .sgpr_count:     34
    .sgpr_spill_count: 0
    .symbol:         bluestein_single_fwd_len2560_dim1_dp_op_CI_CI.kd
    .uniform_work_group_size: 1
    .uses_dynamic_stack: false
    .vgpr_count:     256
    .vgpr_spill_count: 57
    .wavefront_size: 32
    .workgroup_processor_mode: 1
amdhsa.target:   amdgcn-amd-amdhsa--gfx1030
amdhsa.version:
  - 1
  - 2
...

	.end_amdgpu_metadata
